;; amdgpu-corpus repo=ROCm/rocFFT kind=compiled arch=gfx1030 opt=O3
	.text
	.amdgcn_target "amdgcn-amd-amdhsa--gfx1030"
	.amdhsa_code_object_version 6
	.protected	bluestein_single_fwd_len3645_dim1_dp_op_CI_CI ; -- Begin function bluestein_single_fwd_len3645_dim1_dp_op_CI_CI
	.globl	bluestein_single_fwd_len3645_dim1_dp_op_CI_CI
	.p2align	8
	.type	bluestein_single_fwd_len3645_dim1_dp_op_CI_CI,@function
bluestein_single_fwd_len3645_dim1_dp_op_CI_CI: ; @bluestein_single_fwd_len3645_dim1_dp_op_CI_CI
; %bb.0:
	s_load_dwordx4 s[12:15], s[4:5], 0x28
	v_mul_u32_u24_e32 v1, 0x10e, v0
	s_mov_b64 s[26:27], s[2:3]
	s_mov_b64 s[24:25], s[0:1]
	v_mov_b32_e32 v2, 0
	s_add_u32 s24, s24, s7
	v_lshrrev_b32_e32 v3, 16, v1
	s_addc_u32 s25, s25, 0
	s_mov_b32 s0, exec_lo
	v_add_nc_u32_e32 v1, s6, v3
	s_waitcnt lgkmcnt(0)
	v_cmpx_gt_u64_e64 s[12:13], v[1:2]
	s_cbranch_execz .LBB0_2
; %bb.1:
	s_clause 0x2
	s_load_dwordx4 s[8:11], s[4:5], 0x0
	s_load_dwordx4 s[16:19], s[4:5], 0x18
	s_load_dwordx2 s[12:13], s[4:5], 0x38
	v_mul_lo_u16 v2, 0xf3, v3
	v_mov_b32_e32 v83, 4
	v_sub_nc_u16 v78, v0, v2
	v_and_b32_e32 v6, 0xffff, v78
	v_mov_b32_e32 v10, v6
	s_waitcnt lgkmcnt(0)
	s_load_dwordx4 s[0:3], s[18:19], 0x0
	s_mov_b32 s19, 0xbfee6f0e
	v_lshlrev_b32_e32 v76, 4, v10
	v_add_co_u32 v77, null, 0x2d9, v10
	v_mov_b32_e32 v99, v10
	v_add_co_u32 v81, null, 0x1e6, v99
	v_add_co_u32 v79, null, 0x3cc, v99
	s_waitcnt lgkmcnt(0)
	v_mad_u64_u32 v[4:5], null, s2, v1, 0
	v_add_co_u32 v122, s2, s8, v76
	v_add_co_ci_u32_e64 v123, null, s9, 0, s2
	v_mov_b32_e32 v0, v5
	v_mad_u64_u32 v[2:3], null, s3, v1, v[0:1]
	v_mov_b32_e32 v5, v2
	buffer_store_dword v4, off, s[24:27], 0 offset:208 ; 4-byte Folded Spill
	buffer_store_dword v5, off, s[24:27], 0 offset:212 ; 4-byte Folded Spill
	global_load_dwordx4 v[11:14], v76, s[8:9]
	s_load_dwordx4 s[4:7], s[16:17], 0x0
	s_mov_b32 s16, 0x4755a5e
	s_mov_b32 s17, 0x3fe2cf23
	;; [unrolled: 1-line block ×4, first 2 shown]
	s_waitcnt lgkmcnt(0)
	v_mad_u64_u32 v[2:3], null, s6, v1, 0
	s_mul_i32 s2, s5, 0x2d90
	s_mul_hi_u32 s3, s4, 0x2d90
	v_add_co_u32 v80, s6, 0xf3, v99
	s_add_i32 s2, s3, s2
	s_mul_i32 s3, s4, 0x2d90
	v_mov_b32_e32 v0, v3
	v_add_co_ci_u32_e64 v82, null, 0, 0, s6
	v_mad_u64_u32 v[0:1], null, s7, v1, v[0:1]
	s_mov_b32 s6, 0x134454ff
	s_mov_b32 s7, 0x3fee6f0e
	;; [unrolled: 1-line block ×3, first 2 shown]
	v_mov_b32_e32 v3, v0
	v_mad_u64_u32 v[0:1], null, s4, v6, 0
	v_mad_u64_u32 v[4:5], null, s5, v6, v[1:2]
	v_lshlrev_b64 v[2:3], 4, v[2:3]
	s_mul_i32 s5, s5, 0xffff58f0
	s_sub_i32 s5, s5, s4
	v_mov_b32_e32 v1, v4
	v_add_co_u32 v2, vcc_lo, s14, v2
	v_add_co_ci_u32_e32 v3, vcc_lo, s15, v3, vcc_lo
	v_lshlrev_b64 v[0:1], 4, v[0:1]
	s_mov_b32 s15, 0xbfe2cf23
	s_mov_b32 s14, s16
	v_add_co_u32 v8, vcc_lo, v2, v0
	v_add_co_ci_u32_e32 v9, vcc_lo, v3, v1, vcc_lo
	global_load_dwordx4 v[0:3], v[8:9], off
	v_add_co_u32 v8, vcc_lo, v8, s3
	v_add_co_ci_u32_e32 v9, vcc_lo, s2, v9, vcc_lo
	s_waitcnt vmcnt(1)
	buffer_store_dword v11, off, s[24:27], 0 offset:216 ; 4-byte Folded Spill
	buffer_store_dword v12, off, s[24:27], 0 offset:220 ; 4-byte Folded Spill
	;; [unrolled: 1-line block ×4, first 2 shown]
	s_waitcnt vmcnt(0)
	v_mul_f64 v[4:5], v[2:3], v[13:14]
	v_fma_f64 v[4:5], v[0:1], v[11:12], v[4:5]
	v_mul_f64 v[0:1], v[0:1], v[13:14]
	v_fma_f64 v[6:7], v[2:3], v[11:12], -v[0:1]
	global_load_dwordx4 v[0:3], v[8:9], off
	ds_write_b128 v76, v[4:7]
	v_add_co_u32 v4, vcc_lo, 0x2800, v122
	v_add_co_ci_u32_e32 v5, vcc_lo, 0, v123, vcc_lo
	v_add_co_u32 v8, vcc_lo, v8, s3
	v_add_co_ci_u32_e32 v9, vcc_lo, s2, v9, vcc_lo
	global_load_dwordx4 v[10:13], v[4:5], off offset:1424
	s_waitcnt vmcnt(0)
	buffer_store_dword v10, off, s[24:27], 0 offset:232 ; 4-byte Folded Spill
	buffer_store_dword v11, off, s[24:27], 0 offset:236 ; 4-byte Folded Spill
	;; [unrolled: 1-line block ×4, first 2 shown]
	v_mul_f64 v[4:5], v[2:3], v[12:13]
	v_fma_f64 v[4:5], v[0:1], v[10:11], v[4:5]
	v_mul_f64 v[0:1], v[0:1], v[12:13]
	v_fma_f64 v[6:7], v[2:3], v[10:11], -v[0:1]
	global_load_dwordx4 v[0:3], v[8:9], off
	ds_write_b128 v76, v[4:7] offset:11664
	v_add_co_u32 v4, vcc_lo, 0x5800, v122
	v_add_co_ci_u32_e32 v5, vcc_lo, 0, v123, vcc_lo
	v_add_co_u32 v8, vcc_lo, v8, s3
	v_add_co_ci_u32_e32 v9, vcc_lo, s2, v9, vcc_lo
	global_load_dwordx4 v[10:13], v[4:5], off offset:800
	s_waitcnt vmcnt(0)
	buffer_store_dword v10, off, s[24:27], 0 offset:80 ; 4-byte Folded Spill
	buffer_store_dword v11, off, s[24:27], 0 offset:84 ; 4-byte Folded Spill
	;; [unrolled: 1-line block ×4, first 2 shown]
	v_mul_f64 v[4:5], v[2:3], v[12:13]
	v_fma_f64 v[4:5], v[0:1], v[10:11], v[4:5]
	v_mul_f64 v[0:1], v[0:1], v[12:13]
	v_fma_f64 v[6:7], v[2:3], v[10:11], -v[0:1]
	global_load_dwordx4 v[0:3], v[8:9], off
	ds_write_b128 v76, v[4:7] offset:23328
	v_add_co_u32 v4, vcc_lo, 0x8800, v122
	v_add_co_ci_u32_e32 v5, vcc_lo, 0, v123, vcc_lo
	v_add_co_u32 v8, vcc_lo, v8, s3
	v_add_co_ci_u32_e32 v9, vcc_lo, s2, v9, vcc_lo
	global_load_dwordx4 v[10:13], v[4:5], off offset:176
	s_waitcnt vmcnt(0)
	buffer_store_dword v10, off, s[24:27], 0 offset:96 ; 4-byte Folded Spill
	buffer_store_dword v11, off, s[24:27], 0 offset:100 ; 4-byte Folded Spill
	;; [unrolled: 1-line block ×4, first 2 shown]
	v_mul_f64 v[4:5], v[2:3], v[12:13]
	v_fma_f64 v[4:5], v[0:1], v[10:11], v[4:5]
	v_mul_f64 v[0:1], v[0:1], v[12:13]
	v_fma_f64 v[6:7], v[2:3], v[10:11], -v[0:1]
	global_load_dwordx4 v[0:3], v[8:9], off
	v_mad_u64_u32 v[8:9], null, 0xffff58f0, s4, v[8:9]
	v_add_nc_u32_e32 v9, s5, v9
	ds_write_b128 v76, v[4:7] offset:34992
	v_add_co_u32 v4, vcc_lo, 0xb000, v122
	v_add_co_ci_u32_e32 v5, vcc_lo, 0, v123, vcc_lo
	global_load_dwordx4 v[10:13], v[4:5], off offset:1600
	s_waitcnt vmcnt(0)
	buffer_store_dword v10, off, s[24:27], 0 offset:112 ; 4-byte Folded Spill
	buffer_store_dword v11, off, s[24:27], 0 offset:116 ; 4-byte Folded Spill
	buffer_store_dword v12, off, s[24:27], 0 offset:120 ; 4-byte Folded Spill
	buffer_store_dword v13, off, s[24:27], 0 offset:124 ; 4-byte Folded Spill
	v_mul_f64 v[4:5], v[2:3], v[12:13]
	v_fma_f64 v[4:5], v[0:1], v[10:11], v[4:5]
	v_mul_f64 v[0:1], v[0:1], v[12:13]
	v_fma_f64 v[6:7], v[2:3], v[10:11], -v[0:1]
	global_load_dwordx4 v[0:3], v[8:9], off
	ds_write_b128 v76, v[4:7] offset:46656
	v_add_co_u32 v4, vcc_lo, 0x800, v122
	v_add_co_ci_u32_e32 v5, vcc_lo, 0, v123, vcc_lo
	v_add_co_u32 v8, vcc_lo, v8, s3
	v_add_co_ci_u32_e32 v9, vcc_lo, s2, v9, vcc_lo
	global_load_dwordx4 v[10:13], v[4:5], off offset:1840
	s_waitcnt vmcnt(0)
	buffer_store_dword v10, off, s[24:27], 0 offset:128 ; 4-byte Folded Spill
	buffer_store_dword v11, off, s[24:27], 0 offset:132 ; 4-byte Folded Spill
	buffer_store_dword v12, off, s[24:27], 0 offset:136 ; 4-byte Folded Spill
	buffer_store_dword v13, off, s[24:27], 0 offset:140 ; 4-byte Folded Spill
	v_mul_f64 v[4:5], v[2:3], v[12:13]
	v_fma_f64 v[4:5], v[0:1], v[10:11], v[4:5]
	v_mul_f64 v[0:1], v[0:1], v[12:13]
	v_fma_f64 v[6:7], v[2:3], v[10:11], -v[0:1]
	global_load_dwordx4 v[0:3], v[8:9], off
	ds_write_b128 v76, v[4:7] offset:3888
	v_add_co_u32 v4, vcc_lo, 0x3800, v122
	v_add_co_ci_u32_e32 v5, vcc_lo, 0, v123, vcc_lo
	;; [unrolled: 16-line block ×4, first 2 shown]
	v_add_co_u32 v8, vcc_lo, v8, s3
	v_add_co_ci_u32_e32 v9, vcc_lo, s2, v9, vcc_lo
	global_load_dwordx4 v[10:13], v[4:5], off offset:2016
	s_waitcnt vmcnt(0)
	buffer_store_dword v10, off, s[24:27], 0 offset:176 ; 4-byte Folded Spill
	buffer_store_dword v11, off, s[24:27], 0 offset:180 ; 4-byte Folded Spill
	;; [unrolled: 1-line block ×4, first 2 shown]
	v_mul_f64 v[4:5], v[2:3], v[12:13]
	v_fma_f64 v[4:5], v[0:1], v[10:11], v[4:5]
	v_mul_f64 v[0:1], v[0:1], v[12:13]
	v_fma_f64 v[6:7], v[2:3], v[10:11], -v[0:1]
	global_load_dwordx4 v[0:3], v[8:9], off
	v_mad_u64_u32 v[8:9], null, 0xffff58f0, s4, v[8:9]
	v_add_nc_u32_e32 v9, s5, v9
	s_mov_b32 s5, 0xbfebb67a
	ds_write_b128 v76, v[4:7] offset:38880
	v_add_co_u32 v4, vcc_lo, 0xc000, v122
	v_add_co_ci_u32_e32 v5, vcc_lo, 0, v123, vcc_lo
	global_load_dwordx4 v[10:13], v[4:5], off offset:1392
	s_waitcnt vmcnt(0)
	buffer_store_dword v10, off, s[24:27], 0 offset:192 ; 4-byte Folded Spill
	buffer_store_dword v11, off, s[24:27], 0 offset:196 ; 4-byte Folded Spill
	buffer_store_dword v12, off, s[24:27], 0 offset:200 ; 4-byte Folded Spill
	buffer_store_dword v13, off, s[24:27], 0 offset:204 ; 4-byte Folded Spill
	v_mul_f64 v[4:5], v[2:3], v[12:13]
	v_fma_f64 v[4:5], v[0:1], v[10:11], v[4:5]
	v_mul_f64 v[0:1], v[0:1], v[12:13]
	v_fma_f64 v[6:7], v[2:3], v[10:11], -v[0:1]
	global_load_dwordx4 v[0:3], v[8:9], off
	ds_write_b128 v76, v[4:7] offset:50544
	v_add_co_u32 v4, vcc_lo, 0x1800, v122
	v_add_co_ci_u32_e32 v5, vcc_lo, 0, v123, vcc_lo
	v_add_co_u32 v8, vcc_lo, v8, s3
	v_add_co_ci_u32_e32 v9, vcc_lo, s2, v9, vcc_lo
	global_load_dwordx4 v[10:13], v[4:5], off offset:1632
	s_waitcnt vmcnt(0)
	buffer_store_dword v10, off, s[24:27], 0 offset:32 ; 4-byte Folded Spill
	buffer_store_dword v11, off, s[24:27], 0 offset:36 ; 4-byte Folded Spill
	buffer_store_dword v12, off, s[24:27], 0 offset:40 ; 4-byte Folded Spill
	buffer_store_dword v13, off, s[24:27], 0 offset:44 ; 4-byte Folded Spill
	v_mul_f64 v[4:5], v[2:3], v[12:13]
	v_fma_f64 v[4:5], v[0:1], v[10:11], v[4:5]
	v_mul_f64 v[0:1], v[0:1], v[12:13]
	v_fma_f64 v[6:7], v[2:3], v[10:11], -v[0:1]
	global_load_dwordx4 v[0:3], v[8:9], off
	ds_write_b128 v76, v[4:7] offset:7776
	v_add_co_u32 v4, vcc_lo, 0x4800, v122
	v_add_co_ci_u32_e32 v5, vcc_lo, 0, v123, vcc_lo
	;; [unrolled: 16-line block ×4, first 2 shown]
	global_load_dwordx4 v[10:13], v[4:5], off offset:1808
	s_waitcnt vmcnt(0)
	buffer_store_dword v10, off, s[24:27], 0 offset:16 ; 4-byte Folded Spill
	buffer_store_dword v11, off, s[24:27], 0 offset:20 ; 4-byte Folded Spill
	;; [unrolled: 1-line block ×4, first 2 shown]
	v_mul_f64 v[4:5], v[2:3], v[12:13]
	v_fma_f64 v[4:5], v[0:1], v[10:11], v[4:5]
	v_mul_f64 v[0:1], v[0:1], v[12:13]
	v_fma_f64 v[6:7], v[2:3], v[10:11], -v[0:1]
	v_add_co_u32 v0, vcc_lo, v8, s3
	v_add_co_ci_u32_e32 v1, vcc_lo, s2, v9, vcc_lo
	s_mov_b32 s2, 0xe8584caa
	s_mov_b32 s3, 0x3febb67a
	;; [unrolled: 1-line block ×3, first 2 shown]
	global_load_dwordx4 v[0:3], v[0:1], off
	ds_write_b128 v76, v[4:7] offset:42768
	v_add_co_u32 v4, vcc_lo, 0xd000, v122
	v_add_co_ci_u32_e32 v5, vcc_lo, 0, v123, vcc_lo
	v_cmp_gt_u16_e32 vcc_lo, 0x87, v78
	global_load_dwordx4 v[6:9], v[4:5], off offset:1184
	s_waitcnt vmcnt(0)
	buffer_store_dword v6, off, s[24:27], 0 ; 4-byte Folded Spill
	buffer_store_dword v7, off, s[24:27], 0 offset:4 ; 4-byte Folded Spill
	buffer_store_dword v8, off, s[24:27], 0 offset:8 ; 4-byte Folded Spill
	;; [unrolled: 1-line block ×3, first 2 shown]
	v_mul_f64 v[4:5], v[2:3], v[8:9]
	v_fma_f64 v[4:5], v[0:1], v[6:7], v[4:5]
	v_mul_f64 v[0:1], v[0:1], v[8:9]
	v_fma_f64 v[6:7], v[2:3], v[6:7], -v[0:1]
	ds_write_b128 v76, v[4:7] offset:54432
	s_waitcnt lgkmcnt(0)
	s_waitcnt_vscnt null, 0x0
	s_barrier
	buffer_gl0_inv
	ds_read_b128 v[12:15], v76
	ds_read_b128 v[18:21], v76 offset:11664
	ds_read_b128 v[22:25], v76 offset:23328
	;; [unrolled: 1-line block ×14, first 2 shown]
	s_waitcnt lgkmcnt(0)
	s_barrier
	buffer_gl0_inv
	v_add_f64 v[0:1], v[12:13], v[18:19]
	v_add_f64 v[8:9], v[18:19], -v[22:23]
	v_add_f64 v[2:3], v[22:23], v[26:27]
	v_add_f64 v[6:7], v[20:21], -v[38:39]
	v_add_f64 v[10:11], v[24:25], -v[28:29]
	;; [unrolled: 1-line block ×4, first 2 shown]
	v_add_f64 v[0:1], v[0:1], v[22:23]
	v_fma_f64 v[2:3], v[2:3], -0.5, v[12:13]
	v_add_f64 v[8:9], v[8:9], v[16:17]
	v_add_f64 v[16:17], v[22:23], -v[18:19]
	v_add_f64 v[22:23], v[22:23], -v[26:27]
	v_add_f64 v[0:1], v[0:1], v[26:27]
	v_add_f64 v[26:27], v[20:21], -v[24:25]
	v_fma_f64 v[4:5], v[6:7], s[6:7], v[2:3]
	v_fma_f64 v[2:3], v[6:7], s[18:19], v[2:3]
	v_add_f64 v[16:17], v[16:17], v[30:31]
	v_add_f64 v[30:31], v[38:39], -v[28:29]
	v_add_f64 v[0:1], v[0:1], v[36:37]
	v_fma_f64 v[4:5], v[10:11], s[16:17], v[4:5]
	v_fma_f64 v[2:3], v[10:11], s[14:15], v[2:3]
	v_add_f64 v[26:27], v[26:27], v[30:31]
	v_add_f64 v[30:31], v[74:75], -v[62:63]
	v_fma_f64 v[4:5], v[8:9], s[8:9], v[4:5]
	v_fma_f64 v[8:9], v[8:9], s[8:9], v[2:3]
	v_add_f64 v[2:3], v[18:19], v[36:37]
	v_add_f64 v[18:19], v[18:19], -v[36:37]
	v_add_f64 v[36:37], v[64:65], -v[60:61]
	v_fma_f64 v[2:3], v[2:3], -0.5, v[12:13]
	v_fma_f64 v[12:13], v[10:11], s[18:19], v[2:3]
	v_fma_f64 v[2:3], v[10:11], s[6:7], v[2:3]
	;; [unrolled: 1-line block ×4, first 2 shown]
	v_add_f64 v[6:7], v[24:25], v[28:29]
	v_fma_f64 v[12:13], v[16:17], s[8:9], v[12:13]
	v_fma_f64 v[16:17], v[16:17], s[8:9], v[2:3]
	v_fma_f64 v[10:11], v[6:7], -0.5, v[14:15]
	v_add_f64 v[2:3], v[14:15], v[20:21]
	v_fma_f64 v[6:7], v[18:19], s[18:19], v[10:11]
	v_fma_f64 v[10:11], v[18:19], s[6:7], v[10:11]
	v_add_f64 v[2:3], v[2:3], v[24:25]
	v_fma_f64 v[6:7], v[22:23], s[14:15], v[6:7]
	v_fma_f64 v[10:11], v[22:23], s[16:17], v[10:11]
	;; [unrolled: 3-line block ×3, first 2 shown]
	v_add_f64 v[26:27], v[20:21], v[38:39]
	v_add_f64 v[20:21], v[24:25], -v[20:21]
	v_add_f64 v[24:25], v[28:29], -v[38:39]
	v_add_f64 v[28:29], v[68:69], -v[72:73]
	v_add_f64 v[2:3], v[2:3], v[38:39]
	v_add_f64 v[38:39], v[60:61], -v[64:65]
	v_fma_f64 v[26:27], v[26:27], -0.5, v[14:15]
	v_add_f64 v[20:21], v[20:21], v[24:25]
	v_add_f64 v[36:37], v[28:29], v[36:37]
	v_fma_f64 v[14:15], v[22:23], s[6:7], v[26:27]
	v_fma_f64 v[22:23], v[22:23], s[18:19], v[26:27]
	v_add_f64 v[26:27], v[70:71], -v[66:67]
	v_fma_f64 v[14:15], v[18:19], s[14:15], v[14:15]
	v_fma_f64 v[18:19], v[18:19], s[16:17], v[22:23]
	v_add_f64 v[22:23], v[72:73], v[60:61]
	v_fma_f64 v[14:15], v[20:21], s[8:9], v[14:15]
	v_fma_f64 v[18:19], v[20:21], s[8:9], v[18:19]
	v_fma_f64 v[22:23], v[22:23], -0.5, v[32:33]
	v_add_f64 v[20:21], v[32:33], v[68:69]
	v_fma_f64 v[24:25], v[26:27], s[6:7], v[22:23]
	v_fma_f64 v[22:23], v[26:27], s[18:19], v[22:23]
	v_add_f64 v[20:21], v[20:21], v[72:73]
	v_fma_f64 v[24:25], v[30:31], s[16:17], v[24:25]
	v_fma_f64 v[22:23], v[30:31], s[14:15], v[22:23]
	v_add_f64 v[20:21], v[20:21], v[60:61]
	v_add_f64 v[60:61], v[72:73], -v[60:61]
	v_fma_f64 v[28:29], v[36:37], s[8:9], v[24:25]
	v_fma_f64 v[24:25], v[36:37], s[8:9], v[22:23]
	v_add_f64 v[22:23], v[68:69], v[64:65]
	v_add_f64 v[36:37], v[72:73], -v[68:69]
	v_add_f64 v[20:21], v[20:21], v[64:65]
	v_add_f64 v[72:73], v[44:45], -v[40:41]
	v_fma_f64 v[22:23], v[22:23], -0.5, v[32:33]
	v_add_f64 v[36:37], v[36:37], v[38:39]
	v_add_f64 v[38:39], v[68:69], -v[64:65]
	v_add_f64 v[64:65], v[70:71], -v[74:75]
	v_add_f64 v[68:69], v[66:67], -v[62:63]
	v_fma_f64 v[32:33], v[30:31], s[18:19], v[22:23]
	v_fma_f64 v[22:23], v[30:31], s[6:7], v[22:23]
	v_add_f64 v[64:65], v[64:65], v[68:69]
	v_add_f64 v[68:69], v[74:75], -v[70:71]
	v_fma_f64 v[32:33], v[26:27], s[16:17], v[32:33]
	v_fma_f64 v[22:23], v[26:27], s[14:15], v[22:23]
	v_add_f64 v[26:27], v[74:75], v[62:63]
	v_fma_f64 v[32:33], v[36:37], s[8:9], v[32:33]
	v_fma_f64 v[36:37], v[36:37], s[8:9], v[22:23]
	v_fma_f64 v[26:27], v[26:27], -0.5, v[34:35]
	v_add_f64 v[22:23], v[34:35], v[70:71]
	v_fma_f64 v[30:31], v[38:39], s[18:19], v[26:27]
	v_fma_f64 v[26:27], v[38:39], s[6:7], v[26:27]
	v_add_f64 v[22:23], v[22:23], v[74:75]
	v_add_f64 v[74:75], v[40:41], -v[44:45]
	v_fma_f64 v[30:31], v[60:61], s[14:15], v[30:31]
	v_fma_f64 v[26:27], v[60:61], s[16:17], v[26:27]
	v_add_f64 v[22:23], v[22:23], v[62:63]
	v_add_f64 v[62:63], v[62:63], -v[66:67]
	v_fma_f64 v[30:31], v[64:65], s[8:9], v[30:31]
	v_fma_f64 v[26:27], v[64:65], s[8:9], v[26:27]
	v_add_f64 v[64:65], v[70:71], v[66:67]
	v_add_f64 v[62:63], v[68:69], v[62:63]
	;; [unrolled: 1-line block ×3, first 2 shown]
	v_add_f64 v[66:67], v[50:51], -v[46:47]
	v_add_f64 v[70:71], v[54:55], -v[42:43]
	;; [unrolled: 1-line block ×3, first 2 shown]
	v_fma_f64 v[64:65], v[64:65], -0.5, v[34:35]
	v_add_f64 v[72:73], v[68:69], v[72:73]
	v_fma_f64 v[34:35], v[60:61], s[6:7], v[64:65]
	v_fma_f64 v[60:61], v[60:61], s[18:19], v[64:65]
	;; [unrolled: 1-line block ×4, first 2 shown]
	v_add_f64 v[60:61], v[56:57], v[48:49]
	v_fma_f64 v[34:35], v[62:63], s[8:9], v[34:35]
	v_fma_f64 v[38:39], v[62:63], s[8:9], v[38:39]
	v_add_f64 v[62:63], v[52:53], v[40:41]
	v_add_f64 v[60:61], v[60:61], v[52:53]
	v_fma_f64 v[62:63], v[62:63], -0.5, v[56:57]
	v_add_f64 v[60:61], v[60:61], v[40:41]
	v_add_f64 v[40:41], v[52:53], -v[40:41]
	v_fma_f64 v[64:65], v[66:67], s[6:7], v[62:63]
	v_fma_f64 v[62:63], v[66:67], s[18:19], v[62:63]
	v_add_f64 v[60:61], v[60:61], v[44:45]
	v_fma_f64 v[64:65], v[70:71], s[16:17], v[64:65]
	v_fma_f64 v[62:63], v[70:71], s[14:15], v[62:63]
	;; [unrolled: 1-line block ×4, first 2 shown]
	v_add_f64 v[62:63], v[48:49], v[44:45]
	v_add_f64 v[44:45], v[48:49], -v[44:45]
	v_add_f64 v[72:73], v[52:53], -v[48:49]
	;; [unrolled: 1-line block ×3, first 2 shown]
	v_fma_f64 v[62:63], v[62:63], -0.5, v[56:57]
	v_add_f64 v[72:73], v[72:73], v[74:75]
	v_fma_f64 v[56:57], v[70:71], s[18:19], v[62:63]
	v_fma_f64 v[62:63], v[70:71], s[6:7], v[62:63]
	v_add_f64 v[70:71], v[46:47], -v[42:43]
	v_fma_f64 v[56:57], v[66:67], s[16:17], v[56:57]
	v_fma_f64 v[62:63], v[66:67], s[14:15], v[62:63]
	v_add_f64 v[66:67], v[54:55], v[42:43]
	v_add_f64 v[52:53], v[52:53], v[70:71]
	v_fma_f64 v[56:57], v[72:73], s[8:9], v[56:57]
	v_fma_f64 v[72:73], v[72:73], s[8:9], v[62:63]
	v_fma_f64 v[66:67], v[66:67], -0.5, v[58:59]
	v_add_f64 v[62:63], v[58:59], v[50:51]
	v_fma_f64 v[48:49], v[44:45], s[18:19], v[66:67]
	v_add_f64 v[62:63], v[62:63], v[54:55]
	v_fma_f64 v[48:49], v[40:41], s[14:15], v[48:49]
	v_add_f64 v[62:63], v[62:63], v[42:43]
	v_add_f64 v[42:43], v[42:43], -v[46:47]
	v_fma_f64 v[70:71], v[52:53], s[8:9], v[48:49]
	v_fma_f64 v[48:49], v[44:45], s[6:7], v[66:67]
	v_add_f64 v[62:63], v[62:63], v[46:47]
	v_fma_f64 v[48:49], v[40:41], s[16:17], v[48:49]
	v_fma_f64 v[66:67], v[52:53], s[8:9], v[48:49]
	v_add_f64 v[48:49], v[50:51], v[46:47]
	v_add_f64 v[50:51], v[54:55], -v[50:51]
	v_fma_f64 v[48:49], v[48:49], -0.5, v[58:59]
	v_add_f64 v[42:43], v[50:51], v[42:43]
	v_fma_f64 v[52:53], v[40:41], s[6:7], v[48:49]
	v_fma_f64 v[40:41], v[40:41], s[18:19], v[48:49]
	;; [unrolled: 1-line block ×6, first 2 shown]
	v_mul_lo_u16 v40, v78, 5
	v_lshlrev_b32_sdwa v121, v83, v40 dst_sel:DWORD dst_unused:UNUSED_PAD src0_sel:DWORD src1_sel:WORD_0
	ds_write_b128 v121, v[0:3]
	ds_write_b128 v121, v[4:7] offset:16
	ds_write_b128 v121, v[12:15] offset:32
	;; [unrolled: 1-line block ×4, first 2 shown]
	v_mul_u32_u24_e32 v0, 5, v80
	v_lshlrev_b32_e32 v0, 4, v0
	buffer_store_dword v0, off, s[24:27], 0 offset:284 ; 4-byte Folded Spill
	ds_write_b128 v0, v[20:23]
	ds_write_b128 v0, v[28:31] offset:16
	ds_write_b128 v0, v[32:35] offset:32
	ds_write_b128 v0, v[36:39] offset:48
	ds_write_b128 v0, v[24:27] offset:64
	v_mul_u32_u24_e32 v0, 5, v81
	v_lshlrev_b32_e32 v0, 4, v0
	buffer_store_dword v0, off, s[24:27], 0 offset:280 ; 4-byte Folded Spill
	ds_write_b128 v0, v[60:63]
	ds_write_b128 v0, v[68:71] offset:16
	ds_write_b128 v0, v[56:59] offset:32
	;; [unrolled: 1-line block ×4, first 2 shown]
	v_and_b32_e32 v62, 0xff, v78
	s_waitcnt lgkmcnt(0)
	s_waitcnt_vscnt null, 0x0
	s_barrier
	buffer_gl0_inv
	ds_read_b128 v[16:19], v76
	ds_read_b128 v[38:41], v76 offset:19440
	ds_read_b128 v[42:45], v76 offset:38880
	;; [unrolled: 1-line block ×14, first 2 shown]
	v_mul_lo_u16 v36, 0xcd, v62
	v_mov_b32_e32 v73, 0xcccd
	v_lshrrev_b16 v63, 10, v36
	v_mul_lo_u16 v36, v63, 5
	v_sub_nc_u16 v36, v78, v36
	v_and_b32_e32 v64, 0xff, v36
	v_lshlrev_b32_e32 v36, 5, v64
	s_clause 0x1
	global_load_dwordx4 v[65:68], v36, s[10:11] offset:16
	global_load_dwordx4 v[84:87], v36, s[10:11]
	s_waitcnt vmcnt(0)
	buffer_store_dword v84, off, s[24:27], 0 offset:264 ; 4-byte Folded Spill
	buffer_store_dword v85, off, s[24:27], 0 offset:268 ; 4-byte Folded Spill
	;; [unrolled: 1-line block ×8, first 2 shown]
	s_waitcnt lgkmcnt(13)
	v_mul_f64 v[36:37], v[40:41], v[86:87]
	v_fma_f64 v[36:37], v[38:39], v[84:85], -v[36:37]
	v_mul_f64 v[38:39], v[38:39], v[86:87]
	v_fma_f64 v[40:41], v[40:41], v[84:85], v[38:39]
	s_waitcnt lgkmcnt(12)
	v_mul_f64 v[38:39], v[44:45], v[67:68]
	v_fma_f64 v[38:39], v[42:43], v[65:66], -v[38:39]
	v_mul_f64 v[42:43], v[42:43], v[67:68]
	v_fma_f64 v[42:43], v[44:45], v[65:66], v[42:43]
	v_mul_u32_u24_sdwa v44, v80, v73 dst_sel:DWORD dst_unused:UNUSED_PAD src0_sel:WORD_0 src1_sel:DWORD
	v_lshrrev_b32_e32 v65, 18, v44
	v_mul_lo_u16 v44, v65, 5
	v_sub_nc_u16 v66, v80, v44
	v_lshlrev_b16 v44, 1, v66
	v_lshlrev_b32_sdwa v44, v83, v44 dst_sel:DWORD dst_unused:UNUSED_PAD src0_sel:DWORD src1_sel:WORD_0
	s_clause 0x1
	global_load_dwordx4 v[84:87], v44, s[10:11] offset:16
	global_load_dwordx4 v[88:91], v44, s[10:11]
	s_waitcnt vmcnt(0) lgkmcnt(10)
	v_mul_f64 v[44:45], v[48:49], v[90:91]
	v_fma_f64 v[44:45], v[46:47], v[88:89], -v[44:45]
	buffer_store_dword v88, off, s[24:27], 0 offset:304 ; 4-byte Folded Spill
	buffer_store_dword v89, off, s[24:27], 0 offset:308 ; 4-byte Folded Spill
	;; [unrolled: 1-line block ×8, first 2 shown]
	v_mul_f64 v[46:47], v[46:47], v[90:91]
	v_fma_f64 v[50:51], v[48:49], v[88:89], v[46:47]
	s_waitcnt lgkmcnt(9)
	v_mul_f64 v[48:49], v[52:53], v[86:87]
	v_mul_f64 v[46:47], v[54:55], v[86:87]
	v_fma_f64 v[54:55], v[54:55], v[84:85], v[48:49]
	v_mul_u32_u24_sdwa v48, v81, v73 dst_sel:DWORD dst_unused:UNUSED_PAD src0_sel:WORD_0 src1_sel:DWORD
	v_fma_f64 v[46:47], v[52:53], v[84:85], -v[46:47]
	v_lshrrev_b32_e32 v67, 18, v48
	v_mul_lo_u16 v48, v67, 5
	v_sub_nc_u16 v68, v81, v48
	v_lshlrev_b16 v48, 1, v68
	v_lshlrev_b32_sdwa v48, v83, v48 dst_sel:DWORD dst_unused:UNUSED_PAD src0_sel:DWORD src1_sel:WORD_0
	s_clause 0x1
	global_load_dwordx4 v[84:87], v48, s[10:11] offset:16
	global_load_dwordx4 v[88:91], v48, s[10:11]
	s_waitcnt vmcnt(0)
	buffer_store_dword v88, off, s[24:27], 0 offset:320 ; 4-byte Folded Spill
	buffer_store_dword v89, off, s[24:27], 0 offset:324 ; 4-byte Folded Spill
	;; [unrolled: 1-line block ×8, first 2 shown]
	s_waitcnt lgkmcnt(7)
	v_mul_f64 v[48:49], v[58:59], v[90:91]
	v_mul_f64 v[52:53], v[56:57], v[90:91]
	v_fma_f64 v[48:49], v[56:57], v[88:89], -v[48:49]
	s_waitcnt lgkmcnt(6)
	v_mul_f64 v[56:57], v[69:70], v[86:87]
	v_fma_f64 v[58:59], v[58:59], v[88:89], v[52:53]
	v_mul_f64 v[52:53], v[71:72], v[86:87]
	v_fma_f64 v[60:61], v[71:72], v[84:85], v[56:57]
	v_mul_u32_u24_sdwa v56, v77, v73 dst_sel:DWORD dst_unused:UNUSED_PAD src0_sel:WORD_0 src1_sel:DWORD
	v_fma_f64 v[52:53], v[69:70], v[84:85], -v[52:53]
	v_lshrrev_b32_e32 v69, 18, v56
	v_mul_lo_u16 v56, v69, 5
	v_sub_nc_u16 v70, v77, v56
	v_lshlrev_b16 v56, 1, v70
	v_lshlrev_b32_sdwa v56, v83, v56 dst_sel:DWORD dst_unused:UNUSED_PAD src0_sel:DWORD src1_sel:WORD_0
	s_clause 0x1
	global_load_dwordx4 v[84:87], v56, s[10:11] offset:16
	global_load_dwordx4 v[88:91], v56, s[10:11]
	s_waitcnt vmcnt(0)
	buffer_store_dword v88, off, s[24:27], 0 offset:368 ; 4-byte Folded Spill
	buffer_store_dword v89, off, s[24:27], 0 offset:372 ; 4-byte Folded Spill
	;; [unrolled: 1-line block ×8, first 2 shown]
	s_waitcnt lgkmcnt(4)
	v_mul_f64 v[56:57], v[34:35], v[90:91]
	v_fma_f64 v[56:57], v[32:33], v[88:89], -v[56:57]
	v_mul_f64 v[32:33], v[32:33], v[90:91]
	v_fma_f64 v[34:35], v[34:35], v[88:89], v[32:33]
	s_waitcnt lgkmcnt(3)
	v_mul_f64 v[32:33], v[30:31], v[86:87]
	v_fma_f64 v[32:33], v[28:29], v[84:85], -v[32:33]
	v_mul_f64 v[28:29], v[28:29], v[86:87]
	v_fma_f64 v[28:29], v[30:31], v[84:85], v[28:29]
	v_mul_u32_u24_sdwa v30, v79, v73 dst_sel:DWORD dst_unused:UNUSED_PAD src0_sel:WORD_0 src1_sel:DWORD
	v_lshrrev_b32_e32 v30, 18, v30
	v_mul_lo_u16 v31, v30, 5
	v_sub_nc_u16 v75, v79, v31
	v_lshlrev_b16 v31, 1, v75
	v_lshlrev_b32_sdwa v31, v83, v31 dst_sel:DWORD dst_unused:UNUSED_PAD src0_sel:DWORD src1_sel:WORD_0
	s_clause 0x1
	global_load_dwordx4 v[86:89], v31, s[10:11] offset:16
	global_load_dwordx4 v[90:93], v31, s[10:11]
	s_waitcnt vmcnt(0)
	buffer_store_dword v90, off, s[24:27], 0 offset:436 ; 4-byte Folded Spill
	buffer_store_dword v91, off, s[24:27], 0 offset:440 ; 4-byte Folded Spill
	;; [unrolled: 1-line block ×4, first 2 shown]
	s_waitcnt lgkmcnt(1)
	v_mul_f64 v[71:72], v[26:27], v[92:93]
	v_fma_f64 v[73:74], v[24:25], v[90:91], -v[71:72]
	v_mul_f64 v[24:25], v[24:25], v[92:93]
	v_fma_f64 v[84:85], v[26:27], v[90:91], v[24:25]
	v_mov_b32_e32 v91, v89
	v_mov_b32_e32 v90, v88
	;; [unrolled: 1-line block ×4, first 2 shown]
	buffer_store_dword v88, off, s[24:27], 0 offset:452 ; 4-byte Folded Spill
	buffer_store_dword v89, off, s[24:27], 0 offset:456 ; 4-byte Folded Spill
	;; [unrolled: 1-line block ×4, first 2 shown]
	v_add_f64 v[26:27], v[40:41], v[42:43]
	s_waitcnt lgkmcnt(0)
	s_waitcnt_vscnt null, 0x0
	s_barrier
	buffer_gl0_inv
	v_fma_f64 v[26:27], v[26:27], -0.5, v[18:19]
	v_mul_f64 v[24:25], v[22:23], v[90:91]
	v_fma_f64 v[86:87], v[20:21], v[88:89], -v[24:25]
	v_mul_f64 v[20:21], v[20:21], v[90:91]
	v_add_f64 v[24:25], v[40:41], -v[42:43]
	v_fma_f64 v[88:89], v[22:23], v[88:89], v[20:21]
	v_add_f64 v[20:21], v[16:17], v[36:37]
	v_add_f64 v[22:23], v[36:37], v[38:39]
	v_add_f64 v[36:37], v[36:37], -v[38:39]
	v_add_f64 v[20:21], v[20:21], v[38:39]
	v_fma_f64 v[22:23], v[22:23], -0.5, v[16:17]
	v_add_f64 v[38:39], v[44:45], v[46:47]
	v_fma_f64 v[16:17], v[24:25], s[2:3], v[22:23]
	v_fma_f64 v[24:25], v[24:25], s[4:5], v[22:23]
	v_add_f64 v[22:23], v[18:19], v[40:41]
	v_fma_f64 v[38:39], v[38:39], -0.5, v[12:13]
	v_add_f64 v[40:41], v[50:51], -v[54:55]
	v_fma_f64 v[18:19], v[36:37], s[4:5], v[26:27]
	v_fma_f64 v[26:27], v[36:37], s[2:3], v[26:27]
	v_add_f64 v[36:37], v[12:13], v[44:45]
	v_add_f64 v[44:45], v[44:45], -v[46:47]
	v_add_f64 v[22:23], v[22:23], v[42:43]
	v_add_f64 v[42:43], v[50:51], v[54:55]
	v_fma_f64 v[12:13], v[40:41], s[2:3], v[38:39]
	v_fma_f64 v[40:41], v[40:41], s[4:5], v[38:39]
	v_add_f64 v[38:39], v[14:15], v[50:51]
	v_add_f64 v[36:37], v[36:37], v[46:47]
	v_add_f64 v[46:47], v[48:49], v[52:53]
	v_add_f64 v[50:51], v[58:59], -v[60:61]
	v_fma_f64 v[42:43], v[42:43], -0.5, v[14:15]
	v_add_f64 v[38:39], v[38:39], v[54:55]
	v_add_f64 v[54:55], v[58:59], v[60:61]
	v_fma_f64 v[46:47], v[46:47], -0.5, v[8:9]
	v_fma_f64 v[14:15], v[44:45], s[4:5], v[42:43]
	v_fma_f64 v[42:43], v[44:45], s[2:3], v[42:43]
	v_add_f64 v[44:45], v[8:9], v[48:49]
	v_add_f64 v[48:49], v[48:49], -v[52:53]
	v_fma_f64 v[54:55], v[54:55], -0.5, v[10:11]
	v_fma_f64 v[8:9], v[50:51], s[2:3], v[46:47]
	v_fma_f64 v[50:51], v[50:51], s[4:5], v[46:47]
	v_add_f64 v[46:47], v[10:11], v[58:59]
	v_add_f64 v[44:45], v[44:45], v[52:53]
	v_fma_f64 v[10:11], v[48:49], s[4:5], v[54:55]
	v_fma_f64 v[52:53], v[48:49], s[2:3], v[54:55]
	v_add_f64 v[48:49], v[4:5], v[56:57]
	v_add_f64 v[54:55], v[34:35], -v[28:29]
	v_add_f64 v[46:47], v[46:47], v[60:61]
	v_add_f64 v[58:59], v[48:49], v[32:33]
	;; [unrolled: 1-line block ×3, first 2 shown]
	v_add_f64 v[31:32], v[56:57], -v[32:33]
	v_fma_f64 v[48:49], v[48:49], -0.5, v[4:5]
	v_fma_f64 v[4:5], v[54:55], s[2:3], v[48:49]
	v_fma_f64 v[54:55], v[54:55], s[4:5], v[48:49]
	v_add_f64 v[48:49], v[6:7], v[34:35]
	v_add_f64 v[60:61], v[48:49], v[28:29]
	;; [unrolled: 1-line block ×3, first 2 shown]
	v_add_f64 v[33:34], v[84:85], -v[88:89]
	v_add_f64 v[48:49], v[73:74], -v[86:87]
	v_fma_f64 v[28:29], v[28:29], -0.5, v[6:7]
	v_fma_f64 v[6:7], v[31:32], s[4:5], v[28:29]
	v_fma_f64 v[56:57], v[31:32], s[2:3], v[28:29]
	v_add_f64 v[28:29], v[0:1], v[73:74]
	v_add_f64 v[31:32], v[28:29], v[86:87]
	;; [unrolled: 1-line block ×3, first 2 shown]
	v_fma_f64 v[28:29], v[28:29], -0.5, v[0:1]
	v_fma_f64 v[0:1], v[33:34], s[2:3], v[28:29]
	v_fma_f64 v[71:72], v[33:34], s[4:5], v[28:29]
	v_add_f64 v[28:29], v[2:3], v[84:85]
	v_add_f64 v[33:34], v[28:29], v[88:89]
	;; [unrolled: 1-line block ×3, first 2 shown]
	v_fma_f64 v[28:29], v[28:29], -0.5, v[2:3]
	v_fma_f64 v[2:3], v[48:49], s[4:5], v[28:29]
	v_fma_f64 v[73:74], v[48:49], s[2:3], v[28:29]
	v_mov_b32_e32 v28, 15
	v_mul_u32_u24_sdwa v28, v63, v28 dst_sel:DWORD dst_unused:UNUSED_PAD src0_sel:WORD_0 src1_sel:DWORD
	v_add_lshl_u32 v28, v28, v64, 4
	buffer_store_dword v28, off, s[24:27], 0 offset:400 ; 4-byte Folded Spill
	ds_write_b128 v28, v[20:23]
	ds_write_b128 v28, v[16:19] offset:80
	ds_write_b128 v28, v[24:27] offset:160
	v_mad_u16 v16, v65, 15, v66
	v_lshlrev_b32_sdwa v16, v83, v16 dst_sel:DWORD dst_unused:UNUSED_PAD src0_sel:DWORD src1_sel:WORD_0
	buffer_store_dword v16, off, s[24:27], 0 offset:396 ; 4-byte Folded Spill
	ds_write_b128 v16, v[36:39]
	ds_write_b128 v16, v[12:15] offset:80
	ds_write_b128 v16, v[40:43] offset:160
	v_mad_u16 v12, v67, 15, v68
	v_lshlrev_b32_sdwa v12, v83, v12 dst_sel:DWORD dst_unused:UNUSED_PAD src0_sel:DWORD src1_sel:WORD_0
	buffer_store_dword v12, off, s[24:27], 0 offset:392 ; 4-byte Folded Spill
	ds_write_b128 v12, v[44:47]
	ds_write_b128 v12, v[8:11] offset:80
	ds_write_b128 v12, v[50:53] offset:160
	v_mul_lo_u16 v44, 0x89, v62
	v_mad_u16 v8, v69, 15, v70
	v_lshrrev_b16 v44, 11, v44
	v_lshlrev_b32_sdwa v8, v83, v8 dst_sel:DWORD dst_unused:UNUSED_PAD src0_sel:DWORD src1_sel:WORD_0
	v_mul_lo_u16 v45, v44, 15
	buffer_store_dword v8, off, s[24:27], 0 offset:388 ; 4-byte Folded Spill
	ds_write_b128 v8, v[58:61]
	ds_write_b128 v8, v[4:7] offset:80
	ds_write_b128 v8, v[54:57] offset:160
	v_mad_u16 v4, v30, 15, v75
	v_mov_b32_e32 v75, 0x8889
	v_sub_nc_u16 v45, v78, v45
	v_lshlrev_b32_sdwa v4, v83, v4 dst_sel:DWORD dst_unused:UNUSED_PAD src0_sel:DWORD src1_sel:WORD_0
	v_and_b32_e32 v45, 0xff, v45
	buffer_store_dword v4, off, s[24:27], 0 offset:384 ; 4-byte Folded Spill
	ds_write_b128 v4, v[31:34]
	ds_write_b128 v4, v[0:3] offset:80
	ds_write_b128 v4, v[71:74] offset:160
	v_lshlrev_b32_e32 v63, 5, v45
	s_waitcnt lgkmcnt(0)
	s_waitcnt_vscnt null, 0x0
	s_barrier
	buffer_gl0_inv
	ds_read_b128 v[16:19], v76
	ds_read_b128 v[46:49], v76 offset:19440
	ds_read_b128 v[50:53], v76 offset:38880
	;; [unrolled: 1-line block ×14, first 2 shown]
	s_clause 0x1
	global_load_dwordx4 v[67:70], v63, s[10:11] offset:176
	global_load_dwordx4 v[71:74], v63, s[10:11] offset:160
	s_waitcnt vmcnt(0)
	buffer_store_dword v71, off, s[24:27], 0 offset:420 ; 4-byte Folded Spill
	buffer_store_dword v72, off, s[24:27], 0 offset:424 ; 4-byte Folded Spill
	;; [unrolled: 1-line block ×4, first 2 shown]
	s_waitcnt lgkmcnt(13)
	v_mul_f64 v[63:64], v[48:49], v[73:74]
	v_fma_f64 v[63:64], v[46:47], v[71:72], -v[63:64]
	v_mul_f64 v[46:47], v[46:47], v[73:74]
	v_fma_f64 v[65:66], v[48:49], v[71:72], v[46:47]
	v_mov_b32_e32 v72, v70
	v_mov_b32_e32 v71, v69
	;; [unrolled: 1-line block ×4, first 2 shown]
	buffer_store_dword v69, off, s[24:27], 0 offset:404 ; 4-byte Folded Spill
	buffer_store_dword v70, off, s[24:27], 0 offset:408 ; 4-byte Folded Spill
	;; [unrolled: 1-line block ×4, first 2 shown]
	s_waitcnt lgkmcnt(12)
	v_mul_f64 v[46:47], v[52:53], v[71:72]
	v_fma_f64 v[67:68], v[50:51], v[69:70], -v[46:47]
	v_mul_f64 v[46:47], v[50:51], v[71:72]
	v_fma_f64 v[50:51], v[52:53], v[69:70], v[46:47]
	v_mul_u32_u24_sdwa v46, v80, v75 dst_sel:DWORD dst_unused:UNUSED_PAD src0_sel:WORD_0 src1_sel:DWORD
	v_lshrrev_b32_e32 v46, 19, v46
	v_mul_lo_u16 v47, v46, 15
	v_sub_nc_u16 v47, v80, v47
	v_lshlrev_b16 v48, 5, v47
	v_and_b32_e32 v48, 0xffff, v48
	v_add_co_u32 v48, s20, s10, v48
	v_add_co_ci_u32_e64 v49, null, s11, 0, s20
	global_load_dwordx4 v[69:72], v[48:49], off offset:176
	s_waitcnt vmcnt(0)
	buffer_store_dword v69, off, s[24:27], 0 offset:468 ; 4-byte Folded Spill
	buffer_store_dword v70, off, s[24:27], 0 offset:472 ; 4-byte Folded Spill
	;; [unrolled: 1-line block ×4, first 2 shown]
	global_load_dwordx4 v[84:87], v[48:49], off offset:160
	s_waitcnt vmcnt(0)
	buffer_store_dword v84, off, s[24:27], 0 offset:484 ; 4-byte Folded Spill
	buffer_store_dword v85, off, s[24:27], 0 offset:488 ; 4-byte Folded Spill
	;; [unrolled: 1-line block ×4, first 2 shown]
	s_waitcnt lgkmcnt(10)
	v_mul_f64 v[48:49], v[56:57], v[86:87]
	v_fma_f64 v[52:53], v[54:55], v[84:85], -v[48:49]
	v_mul_f64 v[48:49], v[54:55], v[86:87]
	v_fma_f64 v[54:55], v[56:57], v[84:85], v[48:49]
	s_waitcnt lgkmcnt(9)
	v_mul_f64 v[48:49], v[60:61], v[71:72]
	v_fma_f64 v[56:57], v[58:59], v[69:70], -v[48:49]
	v_mul_f64 v[48:49], v[58:59], v[71:72]
	v_fma_f64 v[58:59], v[60:61], v[69:70], v[48:49]
	v_mul_u32_u24_sdwa v48, v81, v75 dst_sel:DWORD dst_unused:UNUSED_PAD src0_sel:WORD_0 src1_sel:DWORD
	v_lshrrev_b32_e32 v48, 19, v48
	v_mul_lo_u16 v49, v48, 15
	v_sub_nc_u16 v49, v81, v49
	v_lshlrev_b16 v60, 5, v49
	v_and_b32_e32 v60, 0xffff, v60
	v_add_co_u32 v60, s20, s10, v60
	v_add_co_ci_u32_e64 v61, null, s11, 0, s20
	s_clause 0x1
	global_load_dwordx4 v[69:72], v[60:61], off offset:176
	global_load_dwordx4 v[84:87], v[60:61], off offset:160
	s_waitcnt vmcnt(0)
	buffer_store_dword v84, off, s[24:27], 0 offset:504 ; 4-byte Folded Spill
	buffer_store_dword v85, off, s[24:27], 0 offset:508 ; 4-byte Folded Spill
	;; [unrolled: 1-line block ×4, first 2 shown]
	v_mov_b32_e32 v74, v72
	v_mov_b32_e32 v73, v71
	;; [unrolled: 1-line block ×4, first 2 shown]
	buffer_store_dword v71, off, s[24:27], 0 offset:520 ; 4-byte Folded Spill
	buffer_store_dword v72, off, s[24:27], 0 offset:524 ; 4-byte Folded Spill
	;; [unrolled: 1-line block ×4, first 2 shown]
	s_waitcnt lgkmcnt(7)
	v_mul_f64 v[60:61], v[42:43], v[86:87]
	v_fma_f64 v[60:61], v[40:41], v[84:85], -v[60:61]
	v_mul_f64 v[40:41], v[40:41], v[86:87]
	v_fma_f64 v[42:43], v[42:43], v[84:85], v[40:41]
	s_waitcnt lgkmcnt(6)
	v_mul_f64 v[40:41], v[38:39], v[73:74]
	v_fma_f64 v[69:70], v[36:37], v[71:72], -v[40:41]
	v_mul_f64 v[36:37], v[36:37], v[73:74]
	v_fma_f64 v[71:72], v[38:39], v[71:72], v[36:37]
	v_mul_u32_u24_sdwa v36, v77, v75 dst_sel:DWORD dst_unused:UNUSED_PAD src0_sel:WORD_0 src1_sel:DWORD
	v_lshrrev_b32_e32 v36, 19, v36
	v_mul_lo_u16 v37, v36, 15
	v_sub_nc_u16 v37, v77, v37
	v_lshlrev_b16 v38, 5, v37
	v_and_b32_e32 v38, 0xffff, v38
	v_add_co_u32 v38, s20, s10, v38
	v_add_co_ci_u32_e64 v39, null, s11, 0, s20
	s_clause 0x1
	global_load_dwordx4 v[86:89], v[38:39], off offset:176
	global_load_dwordx4 v[90:93], v[38:39], off offset:160
	s_waitcnt vmcnt(0)
	buffer_store_dword v90, off, s[24:27], 0 offset:556 ; 4-byte Folded Spill
	buffer_store_dword v91, off, s[24:27], 0 offset:560 ; 4-byte Folded Spill
	;; [unrolled: 1-line block ×4, first 2 shown]
	s_waitcnt lgkmcnt(4)
	v_mul_f64 v[38:39], v[34:35], v[92:93]
	v_fma_f64 v[73:74], v[32:33], v[90:91], -v[38:39]
	v_mov_b32_e32 v38, v86
	v_mov_b32_e32 v39, v87
	;; [unrolled: 1-line block ×4, first 2 shown]
	buffer_store_dword v38, off, s[24:27], 0 offset:540 ; 4-byte Folded Spill
	buffer_store_dword v39, off, s[24:27], 0 offset:544 ; 4-byte Folded Spill
	;; [unrolled: 1-line block ×4, first 2 shown]
	v_mul_f64 v[32:33], v[32:33], v[92:93]
	v_fma_f64 v[84:85], v[34:35], v[90:91], v[32:33]
	v_add_f64 v[34:35], v[54:55], v[58:59]
	v_fma_f64 v[34:35], v[34:35], -0.5, v[14:15]
	s_waitcnt lgkmcnt(3)
	v_mul_f64 v[32:33], v[30:31], v[40:41]
	v_fma_f64 v[86:87], v[28:29], v[38:39], -v[32:33]
	v_mul_f64 v[28:29], v[28:29], v[40:41]
	v_add_f64 v[40:41], v[60:61], v[69:70]
	v_add_f64 v[32:33], v[54:55], -v[58:59]
	v_fma_f64 v[88:89], v[30:31], v[38:39], v[28:29]
	v_mul_u32_u24_sdwa v28, v79, v75 dst_sel:DWORD dst_unused:UNUSED_PAD src0_sel:WORD_0 src1_sel:DWORD
	v_add_f64 v[30:31], v[52:53], v[56:57]
	v_add_f64 v[38:39], v[52:53], -v[56:57]
	v_fma_f64 v[40:41], v[40:41], -0.5, v[8:9]
	v_lshrrev_b32_e32 v75, 19, v28
	v_mul_lo_u16 v28, v75, 15
	v_sub_nc_u16 v98, v79, v28
	v_lshlrev_b16 v28, 5, v98
	v_fma_f64 v[30:31], v[30:31], -0.5, v[12:13]
	v_and_b32_e32 v28, 0xffff, v28
	v_add_co_u32 v28, s20, s10, v28
	v_add_co_ci_u32_e64 v29, null, s11, 0, s20
	s_clause 0x1
	global_load_dwordx4 v[140:143], v[28:29], off offset:176
	global_load_dwordx4 v[144:147], v[28:29], off offset:160
	s_waitcnt vmcnt(0) lgkmcnt(0)
	s_waitcnt_vscnt null, 0x0
	s_barrier
	buffer_gl0_inv
	v_mul_f64 v[28:29], v[26:27], v[146:147]
	v_fma_f64 v[90:91], v[24:25], v[144:145], -v[28:29]
	v_mul_f64 v[24:25], v[24:25], v[146:147]
	v_add_f64 v[28:29], v[63:64], -v[67:68]
	v_fma_f64 v[92:93], v[26:27], v[144:145], v[24:25]
	v_mul_f64 v[24:25], v[22:23], v[142:143]
	v_add_f64 v[26:27], v[65:66], v[50:51]
	v_fma_f64 v[94:95], v[20:21], v[140:141], -v[24:25]
	v_mul_f64 v[20:21], v[20:21], v[142:143]
	v_add_f64 v[24:25], v[65:66], -v[50:51]
	v_fma_f64 v[26:27], v[26:27], -0.5, v[18:19]
	v_fma_f64 v[96:97], v[22:23], v[140:141], v[20:21]
	v_add_f64 v[22:23], v[63:64], v[67:68]
	v_add_f64 v[20:21], v[16:17], v[63:64]
	v_fma_f64 v[22:23], v[22:23], -0.5, v[16:17]
	v_add_f64 v[20:21], v[20:21], v[67:68]
	v_fma_f64 v[16:17], v[24:25], s[2:3], v[22:23]
	v_fma_f64 v[24:25], v[24:25], s[4:5], v[22:23]
	v_add_f64 v[22:23], v[18:19], v[65:66]
	v_fma_f64 v[18:19], v[28:29], s[4:5], v[26:27]
	v_fma_f64 v[26:27], v[28:29], s[2:3], v[26:27]
	;; [unrolled: 3-line block ×4, first 2 shown]
	v_add_f64 v[38:39], v[8:9], v[60:61]
	v_add_f64 v[52:53], v[60:61], -v[69:70]
	v_add_f64 v[60:61], v[73:74], -v[86:87]
	;; [unrolled: 1-line block ×3, first 2 shown]
	v_add_f64 v[22:23], v[22:23], v[50:51]
	v_add_f64 v[50:51], v[42:43], -v[71:72]
	v_add_f64 v[28:29], v[28:29], v[56:57]
	v_add_f64 v[56:57], v[84:85], -v[88:89]
	v_add_f64 v[30:31], v[30:31], v[58:59]
	v_add_f64 v[38:39], v[38:39], v[69:70]
	v_add_f64 v[69:70], v[90:91], -v[94:95]
	v_fma_f64 v[8:9], v[50:51], s[2:3], v[40:41]
	v_fma_f64 v[50:51], v[50:51], s[4:5], v[40:41]
	v_add_f64 v[40:41], v[10:11], v[42:43]
	v_add_f64 v[42:43], v[42:43], v[71:72]
	;; [unrolled: 1-line block ×3, first 2 shown]
	v_fma_f64 v[42:43], v[42:43], -0.5, v[10:11]
	v_fma_f64 v[10:11], v[52:53], s[4:5], v[42:43]
	v_fma_f64 v[52:53], v[52:53], s[2:3], v[42:43]
	v_add_f64 v[42:43], v[4:5], v[73:74]
	v_add_f64 v[54:55], v[42:43], v[86:87]
	;; [unrolled: 1-line block ×3, first 2 shown]
	v_fma_f64 v[42:43], v[42:43], -0.5, v[4:5]
	v_fma_f64 v[4:5], v[56:57], s[2:3], v[42:43]
	v_fma_f64 v[58:59], v[56:57], s[4:5], v[42:43]
	v_add_f64 v[42:43], v[6:7], v[84:85]
	v_add_f64 v[56:57], v[42:43], v[88:89]
	v_add_f64 v[42:43], v[84:85], v[88:89]
	v_mov_b32_e32 v88, 0x2d83
	v_fma_f64 v[42:43], v[42:43], -0.5, v[6:7]
	v_fma_f64 v[6:7], v[60:61], s[4:5], v[42:43]
	v_fma_f64 v[60:61], v[60:61], s[2:3], v[42:43]
	v_add_f64 v[42:43], v[0:1], v[90:91]
	v_add_f64 v[63:64], v[42:43], v[94:95]
	;; [unrolled: 1-line block ×3, first 2 shown]
	v_fma_f64 v[42:43], v[42:43], -0.5, v[0:1]
	v_fma_f64 v[0:1], v[65:66], s[2:3], v[42:43]
	v_fma_f64 v[67:68], v[65:66], s[4:5], v[42:43]
	v_add_f64 v[42:43], v[2:3], v[92:93]
	v_add_f64 v[65:66], v[42:43], v[96:97]
	;; [unrolled: 1-line block ×3, first 2 shown]
	v_fma_f64 v[42:43], v[42:43], -0.5, v[2:3]
	v_fma_f64 v[2:3], v[69:70], s[4:5], v[42:43]
	v_fma_f64 v[69:70], v[69:70], s[2:3], v[42:43]
	v_mov_b32_e32 v42, 45
	v_mul_u32_u24_sdwa v42, v44, v42 dst_sel:DWORD dst_unused:UNUSED_PAD src0_sel:WORD_0 src1_sel:DWORD
	v_add_lshl_u32 v42, v42, v45, 4
	buffer_store_dword v42, off, s[24:27], 0 offset:580 ; 4-byte Folded Spill
	ds_write_b128 v42, v[20:23]
	ds_write_b128 v42, v[16:19] offset:240
	ds_write_b128 v42, v[24:27] offset:480
	v_mad_u16 v16, v46, 45, v47
	v_lshlrev_b32_sdwa v16, v83, v16 dst_sel:DWORD dst_unused:UNUSED_PAD src0_sel:DWORD src1_sel:WORD_0
	buffer_store_dword v16, off, s[24:27], 0 offset:576 ; 4-byte Folded Spill
	ds_write_b128 v16, v[28:31]
	ds_write_b128 v16, v[12:15] offset:240
	ds_write_b128 v16, v[32:35] offset:480
	v_mad_u16 v12, v48, 45, v49
	v_lshlrev_b32_sdwa v12, v83, v12 dst_sel:DWORD dst_unused:UNUSED_PAD src0_sel:DWORD src1_sel:WORD_0
	buffer_store_dword v12, off, s[24:27], 0 offset:572 ; 4-byte Folded Spill
	ds_write_b128 v12, v[38:41]
	ds_write_b128 v12, v[8:11] offset:240
	ds_write_b128 v12, v[50:53] offset:480
	v_mul_lo_u16 v52, 0x6d, v62
	v_mad_u16 v8, v36, 45, v37
	v_lshrrev_b16 v52, 8, v52
	v_lshlrev_b32_sdwa v8, v83, v8 dst_sel:DWORD dst_unused:UNUSED_PAD src0_sel:DWORD src1_sel:WORD_0
	v_sub_nc_u16 v53, v78, v52
	buffer_store_dword v8, off, s[24:27], 0 offset:536 ; 4-byte Folded Spill
	ds_write_b128 v8, v[54:57]
	ds_write_b128 v8, v[4:7] offset:240
	ds_write_b128 v8, v[58:61] offset:480
	v_mad_u16 v4, v75, 45, v98
	v_lshrrev_b16 v53, 1, v53
	v_lshlrev_b32_sdwa v4, v83, v4 dst_sel:DWORD dst_unused:UNUSED_PAD src0_sel:DWORD src1_sel:WORD_0
	v_and_b32_e32 v53, 0x7f, v53
	buffer_store_dword v4, off, s[24:27], 0 offset:500 ; 4-byte Folded Spill
	ds_write_b128 v4, v[63:66]
	ds_write_b128 v4, v[0:3] offset:240
	ds_write_b128 v4, v[67:70] offset:480
	v_add_nc_u16 v52, v53, v52
	s_waitcnt lgkmcnt(0)
	s_waitcnt_vscnt null, 0x0
	s_barrier
	buffer_gl0_inv
	ds_read_b128 v[16:19], v76
	ds_read_b128 v[54:57], v76 offset:19440
	ds_read_b128 v[63:66], v76 offset:38880
	;; [unrolled: 1-line block ×14, first 2 shown]
	v_lshrrev_b16 v58, 5, v52
	v_mul_lo_u16 v52, v58, 45
	v_sub_nc_u16 v52, v78, v52
	v_and_b32_e32 v59, 0xff, v52
	v_lshlrev_b32_e32 v52, 5, v59
	s_clause 0x1
	global_load_dwordx4 v[132:135], v52, s[10:11] offset:656
	global_load_dwordx4 v[136:139], v52, s[10:11] offset:640
	s_waitcnt vmcnt(1) lgkmcnt(12)
	v_mul_f64 v[60:61], v[63:64], v[134:135]
	s_waitcnt vmcnt(0)
	v_mul_f64 v[52:53], v[56:57], v[138:139]
	v_fma_f64 v[52:53], v[54:55], v[136:137], -v[52:53]
	v_mul_f64 v[54:55], v[54:55], v[138:139]
	v_fma_f64 v[56:57], v[56:57], v[136:137], v[54:55]
	v_mul_f64 v[54:55], v[65:66], v[134:135]
	v_fma_f64 v[54:55], v[63:64], v[132:133], -v[54:55]
	v_fma_f64 v[62:63], v[65:66], v[132:133], v[60:61]
	v_mul_u32_u24_sdwa v60, v80, v88 dst_sel:DWORD dst_unused:UNUSED_PAD src0_sel:WORD_0 src1_sel:DWORD
	v_lshrrev_b32_e32 v60, 19, v60
	v_mul_lo_u16 v61, v60, 45
	v_sub_nc_u16 v61, v80, v61
	v_lshlrev_b16 v64, 5, v61
	v_and_b32_e32 v64, 0xffff, v64
	v_add_co_u32 v64, s20, s10, v64
	v_add_co_ci_u32_e64 v65, null, s11, 0, s20
	s_clause 0x1
	global_load_dwordx4 v[148:151], v[64:65], off offset:656
	global_load_dwordx4 v[152:155], v[64:65], off offset:640
	s_waitcnt vmcnt(0) lgkmcnt(10)
	v_mul_f64 v[64:65], v[50:51], v[154:155]
	v_fma_f64 v[64:65], v[48:49], v[152:153], -v[64:65]
	v_mul_f64 v[48:49], v[48:49], v[154:155]
	v_fma_f64 v[48:49], v[50:51], v[152:153], v[48:49]
	s_waitcnt lgkmcnt(9)
	v_mul_f64 v[50:51], v[46:47], v[150:151]
	v_fma_f64 v[50:51], v[44:45], v[148:149], -v[50:51]
	v_mul_f64 v[44:45], v[44:45], v[150:151]
	v_fma_f64 v[46:47], v[46:47], v[148:149], v[44:45]
	v_mul_u32_u24_sdwa v44, v81, v88 dst_sel:DWORD dst_unused:UNUSED_PAD src0_sel:WORD_0 src1_sel:DWORD
	v_lshrrev_b32_e32 v44, 19, v44
	v_mul_lo_u16 v45, v44, 45
	v_sub_nc_u16 v45, v81, v45
	v_lshlrev_b16 v66, 5, v45
	v_and_b32_e32 v66, 0xffff, v66
	v_add_co_u32 v66, s20, s10, v66
	v_add_co_ci_u32_e64 v67, null, s11, 0, s20
	s_clause 0x1
	global_load_dwordx4 v[156:159], v[66:67], off offset:656
	global_load_dwordx4 v[160:163], v[66:67], off offset:640
	s_waitcnt vmcnt(0) lgkmcnt(7)
	v_mul_f64 v[66:67], v[42:43], v[162:163]
	v_fma_f64 v[66:67], v[40:41], v[160:161], -v[66:67]
	v_mul_f64 v[40:41], v[40:41], v[162:163]
	v_fma_f64 v[42:43], v[42:43], v[160:161], v[40:41]
	s_waitcnt lgkmcnt(6)
	v_mul_f64 v[40:41], v[38:39], v[158:159]
	v_fma_f64 v[68:69], v[36:37], v[156:157], -v[40:41]
	v_mul_f64 v[36:37], v[36:37], v[158:159]
	v_add_f64 v[40:41], v[66:67], v[68:69]
	v_fma_f64 v[70:71], v[38:39], v[156:157], v[36:37]
	v_mul_u32_u24_sdwa v36, v77, v88 dst_sel:DWORD dst_unused:UNUSED_PAD src0_sel:WORD_0 src1_sel:DWORD
	v_lshrrev_b32_e32 v36, 19, v36
	v_mul_lo_u16 v37, v36, 45
	v_sub_nc_u16 v37, v77, v37
	v_lshlrev_b16 v38, 5, v37
	v_fma_f64 v[40:41], v[40:41], -0.5, v[8:9]
	v_and_b32_e32 v38, 0xffff, v38
	v_add_co_u32 v38, s20, s10, v38
	v_add_co_ci_u32_e64 v39, null, s11, 0, s20
	s_clause 0x1
	global_load_dwordx4 v[164:167], v[38:39], off offset:656
	global_load_dwordx4 v[168:171], v[38:39], off offset:640
	s_waitcnt vmcnt(0) lgkmcnt(4)
	v_mul_f64 v[38:39], v[34:35], v[170:171]
	v_fma_f64 v[72:73], v[32:33], v[168:169], -v[38:39]
	v_mul_f64 v[32:33], v[32:33], v[170:171]
	v_add_f64 v[38:39], v[64:65], -v[50:51]
	v_fma_f64 v[74:75], v[34:35], v[168:169], v[32:33]
	s_waitcnt lgkmcnt(3)
	v_mul_f64 v[32:33], v[30:31], v[166:167]
	v_add_f64 v[34:35], v[48:49], v[46:47]
	v_fma_f64 v[84:85], v[28:29], v[164:165], -v[32:33]
	v_mul_f64 v[28:29], v[28:29], v[166:167]
	v_add_f64 v[32:33], v[48:49], -v[46:47]
	v_fma_f64 v[34:35], v[34:35], -0.5, v[14:15]
	v_fma_f64 v[86:87], v[30:31], v[164:165], v[28:29]
	v_mul_u32_u24_sdwa v28, v79, v88 dst_sel:DWORD dst_unused:UNUSED_PAD src0_sel:WORD_0 src1_sel:DWORD
	v_add_f64 v[30:31], v[64:65], v[50:51]
	v_lshrrev_b32_e32 v96, 19, v28
	v_mul_lo_u16 v28, v96, 45
	v_sub_nc_u16 v97, v79, v28
	v_lshlrev_b16 v28, 5, v97
	v_fma_f64 v[30:31], v[30:31], -0.5, v[12:13]
	v_and_b32_e32 v28, 0xffff, v28
	v_add_co_u32 v28, s20, s10, v28
	v_add_co_ci_u32_e64 v29, null, s11, 0, s20
	s_clause 0x1
	global_load_dwordx4 v[172:175], v[28:29], off offset:656
	global_load_dwordx4 v[176:179], v[28:29], off offset:640
	s_waitcnt vmcnt(0) lgkmcnt(0)
	s_barrier
	buffer_gl0_inv
	v_mul_f64 v[28:29], v[26:27], v[178:179]
	v_fma_f64 v[88:89], v[24:25], v[176:177], -v[28:29]
	v_mul_f64 v[24:25], v[24:25], v[178:179]
	v_add_f64 v[28:29], v[52:53], -v[54:55]
	v_fma_f64 v[90:91], v[26:27], v[176:177], v[24:25]
	v_mul_f64 v[24:25], v[22:23], v[174:175]
	v_add_f64 v[26:27], v[56:57], v[62:63]
	v_fma_f64 v[92:93], v[20:21], v[172:173], -v[24:25]
	v_mul_f64 v[20:21], v[20:21], v[174:175]
	v_add_f64 v[24:25], v[56:57], -v[62:63]
	v_fma_f64 v[26:27], v[26:27], -0.5, v[18:19]
	v_fma_f64 v[94:95], v[22:23], v[172:173], v[20:21]
	v_add_f64 v[22:23], v[52:53], v[54:55]
	v_add_f64 v[20:21], v[16:17], v[52:53]
	v_add_f64 v[52:53], v[74:75], -v[86:87]
	v_fma_f64 v[22:23], v[22:23], -0.5, v[16:17]
	v_add_f64 v[20:21], v[20:21], v[54:55]
	v_fma_f64 v[16:17], v[24:25], s[2:3], v[22:23]
	v_fma_f64 v[24:25], v[24:25], s[4:5], v[22:23]
	v_add_f64 v[22:23], v[18:19], v[56:57]
	v_fma_f64 v[18:19], v[28:29], s[4:5], v[26:27]
	v_fma_f64 v[26:27], v[28:29], s[2:3], v[26:27]
	;; [unrolled: 3-line block ×4, first 2 shown]
	v_add_f64 v[38:39], v[8:9], v[66:67]
	v_add_f64 v[48:49], v[66:67], -v[68:69]
	v_add_f64 v[56:57], v[72:73], -v[84:85]
	;; [unrolled: 1-line block ×3, first 2 shown]
	v_add_f64 v[22:23], v[22:23], v[62:63]
	v_add_f64 v[28:29], v[28:29], v[50:51]
	;; [unrolled: 1-line block ×3, first 2 shown]
	v_add_f64 v[46:47], v[42:43], -v[70:71]
	v_add_f64 v[38:39], v[38:39], v[68:69]
	v_add_f64 v[68:69], v[88:89], -v[92:93]
	v_fma_f64 v[8:9], v[46:47], s[2:3], v[40:41]
	v_fma_f64 v[46:47], v[46:47], s[4:5], v[40:41]
	v_add_f64 v[40:41], v[10:11], v[42:43]
	v_add_f64 v[42:43], v[42:43], v[70:71]
	;; [unrolled: 1-line block ×3, first 2 shown]
	v_fma_f64 v[42:43], v[42:43], -0.5, v[10:11]
	v_fma_f64 v[10:11], v[48:49], s[4:5], v[42:43]
	v_fma_f64 v[48:49], v[48:49], s[2:3], v[42:43]
	v_add_f64 v[42:43], v[4:5], v[72:73]
	v_add_f64 v[50:51], v[42:43], v[84:85]
	;; [unrolled: 1-line block ×3, first 2 shown]
	v_mov_b32_e32 v84, 0x795d
	v_fma_f64 v[42:43], v[42:43], -0.5, v[4:5]
	v_fma_f64 v[4:5], v[52:53], s[2:3], v[42:43]
	v_fma_f64 v[54:55], v[52:53], s[4:5], v[42:43]
	v_add_f64 v[42:43], v[6:7], v[74:75]
	v_add_f64 v[52:53], v[42:43], v[86:87]
	v_add_f64 v[42:43], v[74:75], v[86:87]
	v_fma_f64 v[42:43], v[42:43], -0.5, v[6:7]
	v_fma_f64 v[6:7], v[56:57], s[4:5], v[42:43]
	v_fma_f64 v[56:57], v[56:57], s[2:3], v[42:43]
	v_add_f64 v[42:43], v[0:1], v[88:89]
	v_add_f64 v[62:63], v[42:43], v[92:93]
	v_add_f64 v[42:43], v[88:89], v[92:93]
	;; [unrolled: 6-line block ×3, first 2 shown]
	v_fma_f64 v[42:43], v[42:43], -0.5, v[2:3]
	v_fma_f64 v[2:3], v[68:69], s[4:5], v[42:43]
	v_fma_f64 v[68:69], v[68:69], s[2:3], v[42:43]
	v_mov_b32_e32 v42, 0x87
	v_mul_u32_u24_sdwa v42, v58, v42 dst_sel:DWORD dst_unused:UNUSED_PAD src0_sel:WORD_0 src1_sel:DWORD
	v_add_lshl_u32 v42, v42, v59, 4
	buffer_store_dword v42, off, s[24:27], 0 offset:604 ; 4-byte Folded Spill
	ds_write_b128 v42, v[20:23]
	ds_write_b128 v42, v[16:19] offset:720
	ds_write_b128 v42, v[24:27] offset:1440
	v_mad_u16 v16, 0x87, v60, v61
	v_lshlrev_b32_sdwa v16, v83, v16 dst_sel:DWORD dst_unused:UNUSED_PAD src0_sel:DWORD src1_sel:WORD_0
	buffer_store_dword v16, off, s[24:27], 0 offset:600 ; 4-byte Folded Spill
	ds_write_b128 v16, v[28:31]
	ds_write_b128 v16, v[12:15] offset:720
	ds_write_b128 v16, v[32:35] offset:1440
	v_mad_u16 v12, 0x87, v44, v45
	v_lshlrev_b32_sdwa v12, v83, v12 dst_sel:DWORD dst_unused:UNUSED_PAD src0_sel:DWORD src1_sel:WORD_0
	buffer_store_dword v12, off, s[24:27], 0 offset:596 ; 4-byte Folded Spill
	ds_write_b128 v12, v[38:41]
	ds_write_b128 v12, v[8:11] offset:720
	ds_write_b128 v12, v[46:49] offset:1440
	v_mad_u16 v8, 0x87, v36, v37
	v_add_co_u32 v36, s20, 0xffffff79, v99
	v_add_co_ci_u32_e64 v37, null, 0, -1, s20
	v_lshlrev_b32_sdwa v8, v83, v8 dst_sel:DWORD dst_unused:UNUSED_PAD src0_sel:DWORD src1_sel:WORD_0
	v_cndmask_b32_e32 v36, v36, v99, vcc_lo
	v_cndmask_b32_e64 v37, v37, 0, vcc_lo
	buffer_store_dword v8, off, s[24:27], 0 offset:592 ; 4-byte Folded Spill
	ds_write_b128 v8, v[50:53]
	ds_write_b128 v8, v[4:7] offset:720
	ds_write_b128 v8, v[54:57] offset:1440
	v_mad_u16 v4, 0x87, v96, v97
	v_lshlrev_b32_sdwa v4, v83, v4 dst_sel:DWORD dst_unused:UNUSED_PAD src0_sel:DWORD src1_sel:WORD_0
	buffer_store_dword v4, off, s[24:27], 0 offset:584 ; 4-byte Folded Spill
	ds_write_b128 v4, v[62:65]
	ds_write_b128 v4, v[0:3] offset:720
	ds_write_b128 v4, v[66:69] offset:1440
	v_lshlrev_b64 v[62:63], 5, v[36:37]
	s_waitcnt lgkmcnt(0)
	s_waitcnt_vscnt null, 0x0
	s_barrier
	buffer_gl0_inv
	ds_read_b128 v[16:19], v76
	ds_read_b128 v[38:41], v76 offset:19440
	ds_read_b128 v[42:45], v76 offset:38880
	;; [unrolled: 1-line block ×14, first 2 shown]
	v_add_co_u32 v37, vcc_lo, s10, v62
	v_add_co_ci_u32_e32 v65, vcc_lo, s11, v63, vcc_lo
	v_add_co_u32 v62, vcc_lo, 0x820, v37
	v_add_co_ci_u32_e32 v63, vcc_lo, 0, v65, vcc_lo
	;; [unrolled: 2-line block ×3, first 2 shown]
	s_clause 0x1
	global_load_dwordx4 v[184:187], v[64:65], off offset:32
	global_load_dwordx4 v[180:183], v[62:63], off offset:16
	s_waitcnt vmcnt(1) lgkmcnt(13)
	v_mul_f64 v[62:63], v[40:41], v[186:187]
	v_fma_f64 v[62:63], v[38:39], v[184:185], -v[62:63]
	v_mul_f64 v[37:38], v[38:39], v[186:187]
	v_fma_f64 v[64:65], v[40:41], v[184:185], v[37:38]
	s_waitcnt vmcnt(0) lgkmcnt(12)
	v_mul_f64 v[37:38], v[44:45], v[182:183]
	v_fma_f64 v[66:67], v[42:43], v[180:181], -v[37:38]
	v_mul_f64 v[37:38], v[42:43], v[182:183]
	v_fma_f64 v[43:44], v[44:45], v[180:181], v[37:38]
	v_mul_u32_u24_sdwa v37, v80, v84 dst_sel:DWORD dst_unused:UNUSED_PAD src0_sel:WORD_0 src1_sel:DWORD
	v_lshrrev_b32_e32 v37, 22, v37
	v_mul_lo_u16 v38, 0x87, v37
	v_sub_nc_u16 v38, v80, v38
	v_lshlrev_b16 v39, 5, v38
	v_and_b32_e32 v39, 0xffff, v39
	v_add_co_u32 v41, s20, s10, v39
	v_add_co_ci_u32_e64 v42, null, s11, 0, s20
	v_add_co_u32 v39, vcc_lo, 0x820, v41
	v_add_co_ci_u32_e32 v40, vcc_lo, 0, v42, vcc_lo
	v_add_co_u32 v41, vcc_lo, 0x800, v41
	v_add_co_ci_u32_e32 v42, vcc_lo, 0, v42, vcc_lo
	s_clause 0x1
	global_load_dwordx4 v[192:195], v[41:42], off offset:32
	global_load_dwordx4 v[188:191], v[39:40], off offset:16
	s_waitcnt vmcnt(1) lgkmcnt(10)
	v_mul_f64 v[39:40], v[48:49], v[194:195]
	v_fma_f64 v[68:69], v[46:47], v[192:193], -v[39:40]
	v_mul_f64 v[39:40], v[46:47], v[194:195]
	v_fma_f64 v[45:46], v[48:49], v[192:193], v[39:40]
	s_waitcnt vmcnt(0) lgkmcnt(9)
	v_mul_f64 v[39:40], v[52:53], v[190:191]
	v_fma_f64 v[47:48], v[50:51], v[188:189], -v[39:40]
	v_mul_f64 v[39:40], v[50:51], v[190:191]
	v_fma_f64 v[49:50], v[52:53], v[188:189], v[39:40]
	v_mul_u32_u24_sdwa v39, v81, v84 dst_sel:DWORD dst_unused:UNUSED_PAD src0_sel:WORD_0 src1_sel:DWORD
	v_lshrrev_b32_e32 v39, 22, v39
	v_mul_lo_u16 v40, 0x87, v39
	v_sub_nc_u16 v40, v81, v40
	v_lshlrev_b16 v41, 5, v40
	v_and_b32_e32 v41, 0xffff, v41
	v_add_co_u32 v51, s20, s10, v41
	v_add_co_ci_u32_e64 v52, null, s11, 0, s20
	v_add_co_u32 v41, vcc_lo, 0x820, v51
	v_add_co_ci_u32_e32 v42, vcc_lo, 0, v52, vcc_lo
	v_add_co_u32 v51, vcc_lo, 0x800, v51
	v_add_co_ci_u32_e32 v52, vcc_lo, 0, v52, vcc_lo
	;; [unrolled: 25-line block ×3, first 2 shown]
	s_clause 0x1
	global_load_dwordx4 v[208:211], v[70:71], off offset:32
	global_load_dwordx4 v[204:207], v[59:60], off offset:16
	s_waitcnt vmcnt(1) lgkmcnt(4)
	v_mul_f64 v[59:60], v[34:35], v[210:211]
	v_fma_f64 v[59:60], v[32:33], v[208:209], -v[59:60]
	v_mul_f64 v[32:33], v[32:33], v[210:211]
	v_fma_f64 v[70:71], v[34:35], v[208:209], v[32:33]
	s_waitcnt vmcnt(0) lgkmcnt(3)
	v_mul_f64 v[32:33], v[30:31], v[206:207]
	v_add_f64 v[34:35], v[45:46], v[49:50]
	v_fma_f64 v[72:73], v[28:29], v[204:205], -v[32:33]
	v_mul_f64 v[28:29], v[28:29], v[206:207]
	v_add_f64 v[32:33], v[45:46], -v[49:50]
	v_fma_f64 v[34:35], v[34:35], -0.5, v[14:15]
	v_fma_f64 v[74:75], v[30:31], v[204:205], v[28:29]
	v_mul_u32_u24_sdwa v28, v79, v84 dst_sel:DWORD dst_unused:UNUSED_PAD src0_sel:WORD_0 src1_sel:DWORD
	v_lshrrev_b32_e32 v92, 22, v28
	v_mul_lo_u16 v28, 0x87, v92
	v_sub_nc_u16 v93, v79, v28
	v_lshlrev_b16 v28, 5, v93
	v_and_b32_e32 v28, 0xffff, v28
	v_add_co_u32 v30, s20, s10, v28
	v_add_co_ci_u32_e64 v31, null, s11, 0, s20
	v_add_co_u32 v28, vcc_lo, 0x820, v30
	v_add_co_ci_u32_e32 v29, vcc_lo, 0, v31, vcc_lo
	v_add_co_u32 v30, vcc_lo, 0x800, v30
	v_add_co_ci_u32_e32 v31, vcc_lo, 0, v31, vcc_lo
	s_clause 0x1
	global_load_dwordx4 v[216:219], v[30:31], off offset:32
	global_load_dwordx4 v[212:215], v[28:29], off offset:16
	v_add_f64 v[30:31], v[68:69], v[47:48]
	v_cmp_lt_u16_e32 vcc_lo, 0x86, v78
	s_waitcnt vmcnt(0) lgkmcnt(0)
	s_barrier
	buffer_gl0_inv
	v_fma_f64 v[30:31], v[30:31], -0.5, v[12:13]
	v_mul_f64 v[28:29], v[26:27], v[218:219]
	v_fma_f64 v[84:85], v[24:25], v[216:217], -v[28:29]
	v_mul_f64 v[24:25], v[24:25], v[218:219]
	v_add_f64 v[28:29], v[62:63], -v[66:67]
	v_fma_f64 v[86:87], v[26:27], v[216:217], v[24:25]
	v_mul_f64 v[24:25], v[22:23], v[214:215]
	v_add_f64 v[26:27], v[64:65], v[43:44]
	v_fma_f64 v[88:89], v[20:21], v[212:213], -v[24:25]
	v_mul_f64 v[20:21], v[20:21], v[214:215]
	v_add_f64 v[24:25], v[64:65], -v[43:44]
	v_fma_f64 v[26:27], v[26:27], -0.5, v[18:19]
	v_fma_f64 v[90:91], v[22:23], v[212:213], v[20:21]
	v_add_f64 v[22:23], v[62:63], v[66:67]
	v_add_f64 v[20:21], v[16:17], v[62:63]
	;; [unrolled: 1-line block ×3, first 2 shown]
	v_fma_f64 v[22:23], v[22:23], -0.5, v[16:17]
	v_add_f64 v[20:21], v[20:21], v[66:67]
	v_fma_f64 v[61:62], v[61:62], -0.5, v[0:1]
	v_fma_f64 v[16:17], v[24:25], s[2:3], v[22:23]
	v_fma_f64 v[24:25], v[24:25], s[4:5], v[22:23]
	v_add_f64 v[22:23], v[18:19], v[64:65]
	v_fma_f64 v[18:19], v[28:29], s[4:5], v[26:27]
	v_fma_f64 v[26:27], v[28:29], s[2:3], v[26:27]
	v_add_f64 v[28:29], v[12:13], v[68:69]
	;; [unrolled: 3-line block ×3, first 2 shown]
	v_add_f64 v[45:46], v[51:52], v[55:56]
	v_add_f64 v[65:66], v[86:87], v[90:91]
	v_add_f64 v[63:64], v[86:87], -v[90:91]
	v_add_f64 v[22:23], v[22:23], v[43:44]
	v_add_f64 v[43:44], v[68:69], -v[47:48]
	v_add_f64 v[67:68], v[84:85], -v[88:89]
	v_add_f64 v[28:29], v[28:29], v[47:48]
	v_add_f64 v[47:48], v[53:54], -v[57:58]
	v_add_f64 v[30:31], v[30:31], v[49:50]
	v_fma_f64 v[45:46], v[45:46], -0.5, v[8:9]
	v_add_f64 v[49:50], v[53:54], v[57:58]
	v_fma_f64 v[65:66], v[65:66], -0.5, v[2:3]
	v_fma_f64 v[14:15], v[43:44], s[4:5], v[34:35]
	v_fma_f64 v[34:35], v[43:44], s[2:3], v[34:35]
	v_add_f64 v[43:44], v[8:9], v[51:52]
	v_add_f64 v[51:52], v[51:52], -v[55:56]
	v_fma_f64 v[8:9], v[47:48], s[2:3], v[45:46]
	v_fma_f64 v[47:48], v[47:48], s[4:5], v[45:46]
	v_add_f64 v[45:46], v[10:11], v[53:54]
	v_add_f64 v[53:54], v[59:60], v[72:73]
	v_fma_f64 v[49:50], v[49:50], -0.5, v[10:11]
	v_add_f64 v[43:44], v[43:44], v[55:56]
	v_add_f64 v[55:56], v[70:71], -v[74:75]
	v_add_f64 v[45:46], v[45:46], v[57:58]
	v_add_f64 v[57:58], v[70:71], v[74:75]
	v_fma_f64 v[53:54], v[53:54], -0.5, v[4:5]
	v_fma_f64 v[10:11], v[51:52], s[4:5], v[49:50]
	v_fma_f64 v[49:50], v[51:52], s[2:3], v[49:50]
	v_add_f64 v[51:52], v[4:5], v[59:60]
	v_add_f64 v[59:60], v[59:60], -v[72:73]
	v_fma_f64 v[57:58], v[57:58], -0.5, v[6:7]
	v_fma_f64 v[4:5], v[55:56], s[2:3], v[53:54]
	v_fma_f64 v[55:56], v[55:56], s[4:5], v[53:54]
	v_add_f64 v[53:54], v[6:7], v[70:71]
	v_add_f64 v[51:52], v[51:52], v[72:73]
	v_fma_f64 v[6:7], v[59:60], s[4:5], v[57:58]
	v_fma_f64 v[57:58], v[59:60], s[2:3], v[57:58]
	v_add_f64 v[59:60], v[0:1], v[84:85]
	v_fma_f64 v[0:1], v[63:64], s[2:3], v[61:62]
	v_fma_f64 v[63:64], v[63:64], s[4:5], v[61:62]
	;; [unrolled: 3-line block ×3, first 2 shown]
	v_cndmask_b32_e64 v67, 0, 0x195, vcc_lo
	v_add_f64 v[53:54], v[53:54], v[74:75]
	v_add_lshl_u32 v36, v36, v67, 4
	buffer_store_dword v36, off, s[24:27], 0 offset:624 ; 4-byte Folded Spill
	ds_write_b128 v36, v[20:23]
	ds_write_b128 v36, v[16:19] offset:2160
	ds_write_b128 v36, v[24:27] offset:4320
	v_mad_u16 v16, 0x195, v37, v38
	v_lshlrev_b32_e32 v20, 5, v99
	v_add_f64 v[59:60], v[59:60], v[88:89]
	v_lshlrev_b32_sdwa v16, v83, v16 dst_sel:DWORD dst_unused:UNUSED_PAD src0_sel:DWORD src1_sel:WORD_0
	v_add_co_u32 v22, s20, s10, v20
	v_add_f64 v[61:62], v[61:62], v[90:91]
	v_add_co_ci_u32_e64 v23, null, s11, 0, s20
	buffer_store_dword v16, off, s[24:27], 0 offset:620 ; 4-byte Folded Spill
	ds_write_b128 v16, v[28:31]
	ds_write_b128 v16, v[12:15] offset:2160
	ds_write_b128 v16, v[32:35] offset:4320
	v_mad_u16 v12, 0x195, v39, v40
	v_add_co_u32 v20, vcc_lo, 0x1900, v22
	v_add_co_ci_u32_e32 v21, vcc_lo, 0, v23, vcc_lo
	v_lshlrev_b32_sdwa v12, v83, v12 dst_sel:DWORD dst_unused:UNUSED_PAD src0_sel:DWORD src1_sel:WORD_0
	buffer_store_dword v12, off, s[24:27], 0 offset:616 ; 4-byte Folded Spill
	ds_write_b128 v12, v[43:46]
	ds_write_b128 v12, v[8:11] offset:2160
	ds_write_b128 v12, v[47:50] offset:4320
	v_mad_u16 v8, 0x195, v41, v42
	v_lshlrev_b32_sdwa v8, v83, v8 dst_sel:DWORD dst_unused:UNUSED_PAD src0_sel:DWORD src1_sel:WORD_0
	buffer_store_dword v8, off, s[24:27], 0 offset:612 ; 4-byte Folded Spill
	ds_write_b128 v8, v[51:54]
	ds_write_b128 v8, v[4:7] offset:2160
	ds_write_b128 v8, v[55:58] offset:4320
	v_mad_u16 v4, 0x195, v92, v93
	v_lshlrev_b32_sdwa v4, v83, v4 dst_sel:DWORD dst_unused:UNUSED_PAD src0_sel:DWORD src1_sel:WORD_0
	buffer_store_dword v4, off, s[24:27], 0 offset:608 ; 4-byte Folded Spill
	ds_write_b128 v4, v[59:62]
	ds_write_b128 v4, v[0:3] offset:2160
	ds_write_b128 v4, v[63:66] offset:4320
	v_add_co_u32 v64, vcc_lo, 0x1800, v22
	v_add_co_ci_u32_e32 v65, vcc_lo, 0, v23, vcc_lo
	s_waitcnt lgkmcnt(0)
	s_waitcnt_vscnt null, 0x0
	s_barrier
	buffer_gl0_inv
	ds_read_b128 v[16:19], v76
	ds_read_b128 v[24:27], v76 offset:19440
	ds_read_b128 v[28:31], v76 offset:38880
	;; [unrolled: 1-line block ×14, first 2 shown]
	buffer_store_dword v99, off, s[24:27], 0 offset:588 ; 4-byte Folded Spill
	s_clause 0x1
	global_load_dwordx4 v[224:227], v[64:65], off offset:256
	global_load_dwordx4 v[220:223], v[20:21], off offset:16
	v_cmp_gt_u16_e32 vcc_lo, 0xa2, v78
	s_waitcnt vmcnt(1) lgkmcnt(13)
	v_mul_f64 v[20:21], v[26:27], v[226:227]
	v_fma_f64 v[64:65], v[24:25], v[224:225], -v[20:21]
	v_mul_f64 v[20:21], v[24:25], v[226:227]
	v_fma_f64 v[66:67], v[26:27], v[224:225], v[20:21]
	s_waitcnt vmcnt(0) lgkmcnt(12)
	v_mul_f64 v[20:21], v[30:31], v[222:223]
	v_fma_f64 v[68:69], v[28:29], v[220:221], -v[20:21]
	v_mul_f64 v[20:21], v[28:29], v[222:223]
	v_mov_b32_e32 v29, 0x43a3
	v_fma_f64 v[70:71], v[30:31], v[220:221], v[20:21]
	v_add_co_u32 v20, s20, 0xffffff5e, v99
	v_add_co_ci_u32_e64 v21, null, 0, -1, s20
	v_cndmask_b32_e32 v20, v20, v80, vcc_lo
	v_cndmask_b32_e32 v21, v21, v82, vcc_lo
	v_lshlrev_b64 v[24:25], 5, v[20:21]
	v_add_co_u32 v21, vcc_lo, s10, v24
	v_add_co_ci_u32_e32 v27, vcc_lo, s11, v25, vcc_lo
	v_add_co_u32 v24, vcc_lo, 0x1900, v21
	v_add_co_ci_u32_e32 v25, vcc_lo, 0, v27, vcc_lo
	;; [unrolled: 2-line block ×3, first 2 shown]
	s_clause 0x1
	global_load_dwordx4 v[232:235], v[26:27], off offset:256
	global_load_dwordx4 v[228:231], v[24:25], off offset:16
	v_mul_u32_u24_sdwa v21, v77, v29 dst_sel:DWORD dst_unused:UNUSED_PAD src0_sel:WORD_0 src1_sel:DWORD
	v_lshrrev_b32_e32 v21, 16, v21
	s_waitcnt vmcnt(1) lgkmcnt(10)
	v_mul_f64 v[24:25], v[34:35], v[234:235]
	v_fma_f64 v[72:73], v[32:33], v[232:233], -v[24:25]
	v_mul_f64 v[24:25], v[32:33], v[234:235]
	v_add_f64 v[31:32], v[66:67], v[70:71]
	v_fma_f64 v[74:75], v[34:35], v[232:233], v[24:25]
	s_waitcnt vmcnt(0) lgkmcnt(9)
	v_mul_f64 v[24:25], v[38:39], v[230:231]
	v_fma_f64 v[31:32], v[31:32], -0.5, v[18:19]
	v_add_f64 v[33:34], v[64:65], -v[68:69]
	v_fma_f64 v[84:85], v[36:37], v[228:229], -v[24:25]
	v_mul_f64 v[24:25], v[36:37], v[230:231]
	v_add_f64 v[35:36], v[72:73], v[84:85]
	v_fma_f64 v[86:87], v[38:39], v[228:229], v[24:25]
	v_add_co_u32 v24, vcc_lo, 0x2320, v22
	v_add_co_ci_u32_e32 v25, vcc_lo, 0, v23, vcc_lo
	v_add_co_u32 v26, vcc_lo, 0x2000, v22
	v_add_co_ci_u32_e32 v27, vcc_lo, 0, v23, vcc_lo
	s_clause 0x1
	global_load_dwordx4 v[240:243], v[26:27], off offset:800
	global_load_dwordx4 v[236:239], v[24:25], off offset:16
	v_fma_f64 v[35:36], v[35:36], -0.5, v[12:13]
	v_add_f64 v[37:38], v[74:75], -v[86:87]
	s_waitcnt vmcnt(1) lgkmcnt(7)
	v_mul_f64 v[24:25], v[42:43], v[242:243]
	v_fma_f64 v[88:89], v[40:41], v[240:241], -v[24:25]
	v_mul_f64 v[24:25], v[40:41], v[242:243]
	v_add_f64 v[39:40], v[74:75], v[86:87]
	v_fma_f64 v[90:91], v[42:43], v[240:241], v[24:25]
	s_waitcnt vmcnt(0) lgkmcnt(6)
	v_mul_f64 v[24:25], v[46:47], v[238:239]
	v_fma_f64 v[39:40], v[39:40], -0.5, v[14:15]
	v_add_f64 v[41:42], v[72:73], -v[84:85]
	v_fma_f64 v[92:93], v[44:45], v[236:237], -v[24:25]
	v_mul_f64 v[24:25], v[44:45], v[238:239]
	v_add_f64 v[43:44], v[88:89], v[92:93]
	v_fma_f64 v[94:95], v[46:47], v[236:237], v[24:25]
	v_sub_nc_u16 v24, v77, v21
	v_lshrrev_b16 v24, 1, v24
	v_add_nc_u16 v21, v24, v21
	v_lshrrev_b16 v21, 8, v21
	v_mul_lo_u16 v24, 0x195, v21
	v_fma_f64 v[43:44], v[43:44], -0.5, v[8:9]
	v_add_f64 v[45:46], v[90:91], -v[94:95]
	v_sub_nc_u16 v24, v77, v24
	v_lshlrev_b16 v25, 5, v24
	v_and_b32_e32 v25, 0xffff, v25
	v_add_co_u32 v27, s20, s10, v25
	v_add_co_ci_u32_e64 v28, null, s11, 0, s20
	v_add_co_u32 v25, vcc_lo, 0x1900, v27
	v_add_co_ci_u32_e32 v26, vcc_lo, 0, v28, vcc_lo
	v_add_co_u32 v27, vcc_lo, 0x1800, v27
	v_add_co_ci_u32_e32 v28, vcc_lo, 0, v28, vcc_lo
	s_clause 0x1
	global_load_dwordx4 v[248:251], v[27:28], off offset:256
	global_load_dwordx4 v[244:247], v[25:26], off offset:16
	s_waitcnt vmcnt(1) lgkmcnt(4)
	v_mul_f64 v[25:26], v[50:51], v[250:251]
	v_fma_f64 v[96:97], v[48:49], v[248:249], -v[25:26]
	v_mul_f64 v[25:26], v[48:49], v[250:251]
	v_add_f64 v[47:48], v[90:91], v[94:95]
	v_fma_f64 v[98:99], v[50:51], v[248:249], v[25:26]
	s_waitcnt vmcnt(0) lgkmcnt(3)
	v_mul_f64 v[25:26], v[54:55], v[246:247]
	v_fma_f64 v[47:48], v[47:48], -0.5, v[10:11]
	v_add_f64 v[49:50], v[88:89], -v[92:93]
	v_fma_f64 v[100:101], v[52:53], v[244:245], -v[25:26]
	v_mul_f64 v[25:26], v[52:53], v[246:247]
	v_add_f64 v[51:52], v[96:97], v[100:101]
	v_fma_f64 v[102:103], v[54:55], v[244:245], v[25:26]
	v_mul_u32_u24_sdwa v25, v79, v29 dst_sel:DWORD dst_unused:UNUSED_PAD src0_sel:WORD_0 src1_sel:DWORD
	v_add_f64 v[29:30], v[66:67], -v[70:71]
	v_lshrrev_b32_e32 v25, 16, v25
	v_sub_nc_u16 v26, v79, v25
	v_lshrrev_b16 v26, 1, v26
	v_add_nc_u16 v25, v26, v25
	v_fma_f64 v[51:52], v[51:52], -0.5, v[4:5]
	v_add_f64 v[53:54], v[98:99], -v[102:103]
	v_lshrrev_b16 v25, 8, v25
	v_mul_lo_u16 v25, 0x195, v25
	v_sub_nc_u16 v82, v79, v25
	v_lshlrev_b16 v25, 5, v82
	v_and_b32_e32 v25, 0xffff, v25
	v_add_co_u32 v27, s20, s10, v25
	v_add_co_ci_u32_e64 v28, null, s11, 0, s20
	v_add_co_u32 v25, vcc_lo, 0x1900, v27
	v_add_co_ci_u32_e32 v26, vcc_lo, 0, v28, vcc_lo
	v_add_co_u32 v27, vcc_lo, 0x1800, v27
	v_add_co_ci_u32_e32 v28, vcc_lo, 0, v28, vcc_lo
	s_clause 0x1
	global_load_dwordx4 v[128:131], v[27:28], off offset:256
	global_load_dwordx4 v[252:255], v[25:26], off offset:16
	v_add_f64 v[27:28], v[64:65], v[68:69]
	v_cmp_lt_u16_e32 vcc_lo, 0xa1, v78
	s_waitcnt vmcnt(0) lgkmcnt(0)
	s_waitcnt_vscnt null, 0x0
	s_barrier
	buffer_gl0_inv
	v_fma_f64 v[27:28], v[27:28], -0.5, v[16:17]
	v_mul_f64 v[25:26], v[58:59], v[130:131]
	v_fma_f64 v[104:105], v[56:57], v[128:129], -v[25:26]
	v_mul_f64 v[25:26], v[56:57], v[130:131]
	v_add_f64 v[55:56], v[98:99], v[102:103]
	v_fma_f64 v[106:107], v[58:59], v[128:129], v[25:26]
	v_mul_f64 v[25:26], v[62:63], v[254:255]
	v_fma_f64 v[55:56], v[55:56], -0.5, v[6:7]
	v_add_f64 v[57:58], v[96:97], -v[100:101]
	v_fma_f64 v[108:109], v[60:61], v[252:253], -v[25:26]
	v_mul_f64 v[25:26], v[60:61], v[254:255]
	v_add_f64 v[59:60], v[104:105], v[108:109]
	v_fma_f64 v[110:111], v[62:63], v[252:253], v[25:26]
	v_add_f64 v[25:26], v[16:17], v[64:65]
	v_fma_f64 v[16:17], v[29:30], s[2:3], v[27:28]
	v_fma_f64 v[29:30], v[29:30], s[4:5], v[27:28]
	v_add_f64 v[27:28], v[18:19], v[66:67]
	v_fma_f64 v[18:19], v[33:34], s[4:5], v[31:32]
	;; [unrolled: 3-line block ×7, first 2 shown]
	v_fma_f64 v[59:60], v[59:60], -0.5, v[0:1]
	v_add_f64 v[61:62], v[106:107], -v[110:111]
	v_add_f64 v[63:64], v[106:107], v[110:111]
	v_fma_f64 v[53:54], v[53:54], s[4:5], v[51:52]
	v_add_f64 v[51:52], v[6:7], v[98:99]
	v_add_f64 v[25:26], v[25:26], v[68:69]
	;; [unrolled: 1-line block ×3, first 2 shown]
	v_fma_f64 v[6:7], v[57:58], s[4:5], v[55:56]
	v_fma_f64 v[55:56], v[57:58], s[2:3], v[55:56]
	v_add_f64 v[57:58], v[0:1], v[104:105]
	v_add_f64 v[65:66], v[104:105], -v[108:109]
	v_add_f64 v[33:34], v[33:34], v[84:85]
	v_add_f64 v[35:36], v[35:36], v[86:87]
	ds_write_b128 v76, v[25:28]
	ds_write_b128 v76, v[16:19] offset:6480
	ds_write_b128 v76, v[29:32] offset:12960
	v_fma_f64 v[0:1], v[61:62], s[2:3], v[59:60]
	v_fma_f64 v[61:62], v[61:62], s[4:5], v[59:60]
	v_add_f64 v[59:60], v[2:3], v[106:107]
	v_fma_f64 v[63:64], v[63:64], -0.5, v[2:3]
	v_add_f64 v[41:42], v[41:42], v[92:93]
	v_add_f64 v[43:44], v[43:44], v[94:95]
	;; [unrolled: 1-line block ×4, first 2 shown]
	v_cndmask_b32_e64 v16, 0, 0x4bf, vcc_lo
	v_add_f64 v[57:58], v[57:58], v[108:109]
	v_add_lshl_u32 v16, v20, v16, 4
	v_add_co_u32 v20, vcc_lo, 0x4ba0, v22
	buffer_store_dword v16, off, s[24:27], 0 offset:636 ; 4-byte Folded Spill
	ds_write_b128 v16, v[33:36]
	ds_write_b128 v16, v[12:15] offset:6480
	ds_write_b128 v16, v[37:40] offset:12960
	;; [unrolled: 1-line block ×5, first 2 shown]
	v_add_f64 v[59:60], v[59:60], v[110:111]
	v_fma_f64 v[2:3], v[65:66], s[4:5], v[63:64]
	v_fma_f64 v[63:64], v[65:66], s[2:3], v[63:64]
	v_mad_u16 v8, 0x4bf, v21, v24
	v_add_co_ci_u32_e32 v21, vcc_lo, 0, v23, vcc_lo
	v_add_co_u32 v22, vcc_lo, 0x4800, v22
	v_lshlrev_b32_sdwa v8, v83, v8 dst_sel:DWORD dst_unused:UNUSED_PAD src0_sel:DWORD src1_sel:WORD_0
	v_add_co_ci_u32_e32 v23, vcc_lo, 0, v23, vcc_lo
	buffer_store_dword v8, off, s[24:27], 0 offset:632 ; 4-byte Folded Spill
	ds_write_b128 v8, v[49:52]
	ds_write_b128 v8, v[4:7] offset:6480
	ds_write_b128 v8, v[53:56] offset:12960
	v_lshlrev_b32_sdwa v4, v83, v82 dst_sel:DWORD dst_unused:UNUSED_PAD src0_sel:DWORD src1_sel:WORD_0
	buffer_store_dword v4, off, s[24:27], 0 offset:628 ; 4-byte Folded Spill
	ds_write_b128 v4, v[57:60] offset:38880
	ds_write_b128 v4, v[0:3] offset:45360
	;; [unrolled: 1-line block ×3, first 2 shown]
	s_waitcnt lgkmcnt(0)
	s_waitcnt_vscnt null, 0x0
	s_barrier
	buffer_gl0_inv
	ds_read_b128 v[16:19], v76
	ds_read_b128 v[24:27], v76 offset:19440
	ds_read_b128 v[28:31], v76 offset:38880
	;; [unrolled: 1-line block ×14, first 2 shown]
	s_clause 0x1
	global_load_dwordx4 v[115:118], v[22:23], off offset:928
	global_load_dwordx4 v[124:127], v[20:21], off offset:16
	s_waitcnt vmcnt(1) lgkmcnt(13)
	v_mul_f64 v[20:21], v[26:27], v[117:118]
	v_fma_f64 v[64:65], v[24:25], v[115:116], -v[20:21]
	v_mul_f64 v[20:21], v[24:25], v[117:118]
	v_lshlrev_b32_e32 v24, 5, v79
	v_fma_f64 v[26:27], v[26:27], v[115:116], v[20:21]
	s_waitcnt vmcnt(0) lgkmcnt(12)
	v_mul_f64 v[20:21], v[30:31], v[126:127]
	v_fma_f64 v[66:67], v[28:29], v[124:125], -v[20:21]
	v_mul_f64 v[20:21], v[28:29], v[126:127]
	v_fma_f64 v[28:29], v[30:31], v[124:125], v[20:21]
	v_lshlrev_b32_e32 v20, 5, v80
	v_add_co_u32 v22, s20, s10, v20
	v_add_co_ci_u32_e64 v23, null, s11, 0, s20
	v_add_co_u32 v20, vcc_lo, 0x4ba0, v22
	v_add_co_ci_u32_e32 v21, vcc_lo, 0, v23, vcc_lo
	v_add_co_u32 v22, vcc_lo, 0x4800, v22
	v_add_co_ci_u32_e32 v23, vcc_lo, 0, v23, vcc_lo
	s_clause 0x1
	global_load_dwordx4 v[107:110], v[22:23], off offset:928
	global_load_dwordx4 v[111:114], v[20:21], off offset:16
	s_waitcnt vmcnt(1) lgkmcnt(10)
	v_mul_f64 v[20:21], v[34:35], v[109:110]
	v_fma_f64 v[68:69], v[32:33], v[107:108], -v[20:21]
	v_mul_f64 v[20:21], v[32:33], v[109:110]
	v_fma_f64 v[34:35], v[34:35], v[107:108], v[20:21]
	s_waitcnt vmcnt(0) lgkmcnt(9)
	v_mul_f64 v[20:21], v[38:39], v[113:114]
	v_fma_f64 v[70:71], v[36:37], v[111:112], -v[20:21]
	v_mul_f64 v[20:21], v[36:37], v[113:114]
	v_fma_f64 v[36:37], v[38:39], v[111:112], v[20:21]
	v_lshlrev_b32_e32 v20, 5, v81
	v_add_co_u32 v22, s20, s10, v20
	v_add_co_ci_u32_e64 v23, null, s11, 0, s20
	v_add_co_u32 v20, vcc_lo, 0x4ba0, v22
	v_add_co_ci_u32_e32 v21, vcc_lo, 0, v23, vcc_lo
	v_add_co_u32 v22, vcc_lo, 0x4800, v22
	v_add_co_ci_u32_e32 v23, vcc_lo, 0, v23, vcc_lo
	s_clause 0x1
	global_load_dwordx4 v[99:102], v[22:23], off offset:928
	global_load_dwordx4 v[103:106], v[20:21], off offset:16
	v_add_f64 v[32:33], v[34:35], -v[36:37]
	s_waitcnt vmcnt(1) lgkmcnt(7)
	v_mul_f64 v[20:21], v[42:43], v[101:102]
	v_fma_f64 v[72:73], v[40:41], v[99:100], -v[20:21]
	v_mul_f64 v[20:21], v[40:41], v[101:102]
	v_fma_f64 v[42:43], v[42:43], v[99:100], v[20:21]
	s_waitcnt vmcnt(0) lgkmcnt(6)
	v_mul_f64 v[20:21], v[46:47], v[105:106]
	v_fma_f64 v[74:75], v[44:45], v[103:104], -v[20:21]
	v_mul_f64 v[20:21], v[44:45], v[105:106]
	v_add_f64 v[38:39], v[72:73], v[74:75]
	v_fma_f64 v[44:45], v[46:47], v[103:104], v[20:21]
	v_lshlrev_b32_e32 v20, 5, v77
	v_add_co_u32 v22, s20, s10, v20
	v_add_co_ci_u32_e64 v23, null, s11, 0, s20
	v_add_co_u32 v30, s10, s10, v24
	v_add_co_u32 v20, vcc_lo, 0x4ba0, v22
	v_add_co_ci_u32_e32 v21, vcc_lo, 0, v23, vcc_lo
	v_add_co_u32 v22, vcc_lo, 0x4800, v22
	v_add_co_ci_u32_e64 v31, null, s11, 0, s10
	v_add_co_ci_u32_e32 v23, vcc_lo, 0, v23, vcc_lo
	v_add_co_u32 v24, vcc_lo, 0x4ba0, v30
	v_add_co_ci_u32_e32 v25, vcc_lo, 0, v31, vcc_lo
	v_add_co_u32 v30, vcc_lo, 0x4800, v30
	v_add_co_ci_u32_e32 v31, vcc_lo, 0, v31, vcc_lo
	s_clause 0x3
	global_load_dwordx4 v[91:94], v[22:23], off offset:928
	global_load_dwordx4 v[95:98], v[20:21], off offset:16
	global_load_dwordx4 v[83:86], v[30:31], off offset:928
	global_load_dwordx4 v[87:90], v[24:25], off offset:16
	v_add_f64 v[30:31], v[26:27], -v[28:29]
	v_fma_f64 v[38:39], v[38:39], -0.5, v[8:9]
	v_add_f64 v[40:41], v[42:43], -v[44:45]
	s_waitcnt vmcnt(3) lgkmcnt(4)
	v_mul_f64 v[20:21], v[50:51], v[93:94]
	s_waitcnt vmcnt(2) lgkmcnt(3)
	v_mul_f64 v[22:23], v[52:53], v[97:98]
	;; [unrolled: 2-line block ×3, first 2 shown]
	v_fma_f64 v[77:78], v[48:49], v[91:92], -v[20:21]
	v_mul_f64 v[20:21], v[48:49], v[93:94]
	v_fma_f64 v[22:23], v[54:55], v[95:96], v[22:23]
	v_fma_f64 v[81:82], v[56:57], v[83:84], -v[24:25]
	v_mul_f64 v[24:25], v[56:57], v[85:86]
	v_fma_f64 v[50:51], v[50:51], v[91:92], v[20:21]
	v_mul_f64 v[20:21], v[54:55], v[97:98]
	v_fma_f64 v[58:59], v[58:59], v[83:84], v[24:25]
	s_waitcnt vmcnt(0) lgkmcnt(0)
	v_mul_f64 v[24:25], v[62:63], v[89:90]
	v_add_f64 v[48:49], v[50:51], -v[22:23]
	v_fma_f64 v[20:21], v[52:53], v[95:96], -v[20:21]
	v_fma_f64 v[79:80], v[60:61], v[87:88], -v[24:25]
	v_mul_f64 v[24:25], v[60:61], v[89:90]
	v_add_f64 v[46:47], v[77:78], v[20:21]
	v_fma_f64 v[119:120], v[62:63], v[87:88], v[24:25]
	v_add_f64 v[24:25], v[16:17], v[64:65]
	v_fma_f64 v[46:47], v[46:47], -0.5, v[4:5]
	v_add_f64 v[60:61], v[24:25], v[66:67]
	v_add_f64 v[24:25], v[64:65], v[66:67]
	v_fma_f64 v[24:25], v[24:25], -0.5, v[16:17]
	v_fma_f64 v[16:17], v[30:31], s[2:3], v[24:25]
	v_fma_f64 v[24:25], v[30:31], s[4:5], v[24:25]
	v_add_f64 v[30:31], v[18:19], v[26:27]
	v_add_f64 v[26:27], v[26:27], v[28:29]
	;; [unrolled: 1-line block ×4, first 2 shown]
	v_fma_f64 v[26:27], v[26:27], -0.5, v[18:19]
	v_add_f64 v[28:29], v[64:65], -v[66:67]
	v_fma_f64 v[30:31], v[30:31], -0.5, v[12:13]
	v_fma_f64 v[18:19], v[28:29], s[4:5], v[26:27]
	v_fma_f64 v[26:27], v[28:29], s[2:3], v[26:27]
	v_add_f64 v[28:29], v[12:13], v[68:69]
	v_fma_f64 v[12:13], v[32:33], s[2:3], v[30:31]
	v_fma_f64 v[32:33], v[32:33], s[4:5], v[30:31]
	v_add_f64 v[30:31], v[14:15], v[34:35]
	v_add_f64 v[34:35], v[34:35], v[36:37]
	;; [unrolled: 1-line block ×4, first 2 shown]
	v_fma_f64 v[34:35], v[34:35], -0.5, v[14:15]
	v_add_f64 v[36:37], v[68:69], -v[70:71]
	v_fma_f64 v[14:15], v[36:37], s[4:5], v[34:35]
	v_fma_f64 v[34:35], v[36:37], s[2:3], v[34:35]
	v_add_f64 v[36:37], v[8:9], v[72:73]
	v_fma_f64 v[8:9], v[40:41], s[2:3], v[38:39]
	v_fma_f64 v[40:41], v[40:41], s[4:5], v[38:39]
	v_add_f64 v[38:39], v[10:11], v[42:43]
	v_add_f64 v[42:43], v[42:43], v[44:45]
	;; [unrolled: 1-line block ×4, first 2 shown]
	v_fma_f64 v[42:43], v[42:43], -0.5, v[10:11]
	v_add_f64 v[44:45], v[72:73], -v[74:75]
	v_fma_f64 v[10:11], v[44:45], s[4:5], v[42:43]
	v_fma_f64 v[42:43], v[44:45], s[2:3], v[42:43]
	v_add_f64 v[44:45], v[4:5], v[77:78]
	v_fma_f64 v[4:5], v[48:49], s[2:3], v[46:47]
	v_fma_f64 v[48:49], v[48:49], s[4:5], v[46:47]
	v_add_f64 v[46:47], v[6:7], v[50:51]
	v_add_f64 v[44:45], v[44:45], v[20:21]
	v_add_f64 v[20:21], v[77:78], -v[20:21]
	v_add_f64 v[46:47], v[46:47], v[22:23]
	v_add_f64 v[22:23], v[50:51], v[22:23]
	v_fma_f64 v[22:23], v[22:23], -0.5, v[6:7]
	v_fma_f64 v[6:7], v[20:21], s[4:5], v[22:23]
	v_fma_f64 v[50:51], v[20:21], s[2:3], v[22:23]
	v_add_f64 v[20:21], v[0:1], v[81:82]
	v_add_f64 v[22:23], v[58:59], -v[119:120]
	v_add_f64 v[52:53], v[20:21], v[79:80]
	v_add_f64 v[20:21], v[81:82], v[79:80]
	v_fma_f64 v[20:21], v[20:21], -0.5, v[0:1]
	v_fma_f64 v[0:1], v[22:23], s[2:3], v[20:21]
	v_fma_f64 v[56:57], v[22:23], s[4:5], v[20:21]
	v_add_f64 v[20:21], v[2:3], v[58:59]
	v_add_f64 v[22:23], v[81:82], -v[79:80]
	v_add_f64 v[54:55], v[20:21], v[119:120]
	v_add_f64 v[20:21], v[58:59], v[119:120]
	v_fma_f64 v[20:21], v[20:21], -0.5, v[2:3]
	v_fma_f64 v[2:3], v[22:23], s[4:5], v[20:21]
	v_fma_f64 v[58:59], v[22:23], s[2:3], v[20:21]
	ds_write_b128 v76, v[60:63]
	ds_write_b128 v76, v[16:19] offset:19440
	ds_write_b128 v76, v[24:27] offset:38880
	;; [unrolled: 1-line block ×14, first 2 shown]
	v_add_co_u32 v4, vcc_lo, 0xe000, v122
	v_add_co_ci_u32_e32 v5, vcc_lo, 0, v123, vcc_lo
	s_waitcnt lgkmcnt(0)
	s_barrier
	buffer_gl0_inv
	global_load_dwordx4 v[4:7], v[4:5], off offset:976
	ds_read_b128 v[0:3], v76
	s_waitcnt vmcnt(0) lgkmcnt(0)
	v_mul_f64 v[8:9], v[2:3], v[6:7]
	v_fma_f64 v[8:9], v[0:1], v[4:5], -v[8:9]
	v_mul_f64 v[0:1], v[0:1], v[6:7]
	v_fma_f64 v[10:11], v[2:3], v[4:5], v[0:1]
	v_add_co_u32 v4, vcc_lo, 0x11000, v122
	v_add_co_ci_u32_e32 v5, vcc_lo, 0, v123, vcc_lo
	ds_read_b128 v[0:3], v76 offset:11664
	global_load_dwordx4 v[4:7], v[4:5], off offset:352
	ds_write_b128 v76, v[8:11]
	s_waitcnt vmcnt(0) lgkmcnt(1)
	v_mul_f64 v[8:9], v[2:3], v[6:7]
	v_fma_f64 v[8:9], v[0:1], v[4:5], -v[8:9]
	v_mul_f64 v[0:1], v[0:1], v[6:7]
	v_fma_f64 v[10:11], v[2:3], v[4:5], v[0:1]
	v_add_co_u32 v4, vcc_lo, 0x13800, v122
	v_add_co_ci_u32_e32 v5, vcc_lo, 0, v123, vcc_lo
	ds_read_b128 v[0:3], v76 offset:23328
	global_load_dwordx4 v[4:7], v[4:5], off offset:1776
	ds_write_b128 v76, v[8:11] offset:11664
	s_waitcnt vmcnt(0) lgkmcnt(1)
	v_mul_f64 v[8:9], v[2:3], v[6:7]
	v_fma_f64 v[8:9], v[0:1], v[4:5], -v[8:9]
	v_mul_f64 v[0:1], v[0:1], v[6:7]
	v_fma_f64 v[10:11], v[2:3], v[4:5], v[0:1]
	v_add_co_u32 v4, vcc_lo, 0x16800, v122
	v_add_co_ci_u32_e32 v5, vcc_lo, 0, v123, vcc_lo
	ds_read_b128 v[0:3], v76 offset:34992
	global_load_dwordx4 v[4:7], v[4:5], off offset:1152
	ds_write_b128 v76, v[8:11] offset:23328
	s_waitcnt vmcnt(0) lgkmcnt(1)
	v_mul_f64 v[8:9], v[2:3], v[6:7]
	v_fma_f64 v[8:9], v[0:1], v[4:5], -v[8:9]
	v_mul_f64 v[0:1], v[0:1], v[6:7]
	v_fma_f64 v[10:11], v[2:3], v[4:5], v[0:1]
	v_add_co_u32 v4, vcc_lo, 0x19800, v122
	v_add_co_ci_u32_e32 v5, vcc_lo, 0, v123, vcc_lo
	ds_read_b128 v[0:3], v76 offset:46656
	global_load_dwordx4 v[4:7], v[4:5], off offset:528
	ds_write_b128 v76, v[8:11] offset:34992
	s_waitcnt vmcnt(0) lgkmcnt(1)
	v_mul_f64 v[8:9], v[2:3], v[6:7]
	v_fma_f64 v[8:9], v[0:1], v[4:5], -v[8:9]
	v_mul_f64 v[0:1], v[0:1], v[6:7]
	v_fma_f64 v[10:11], v[2:3], v[4:5], v[0:1]
	v_add_co_u32 v4, vcc_lo, 0xf000, v122
	v_add_co_ci_u32_e32 v5, vcc_lo, 0, v123, vcc_lo
	ds_read_b128 v[0:3], v76 offset:3888
	global_load_dwordx4 v[4:7], v[4:5], off offset:768
	ds_write_b128 v76, v[8:11] offset:46656
	s_waitcnt vmcnt(0) lgkmcnt(1)
	v_mul_f64 v[8:9], v[2:3], v[6:7]
	v_fma_f64 v[8:9], v[0:1], v[4:5], -v[8:9]
	v_mul_f64 v[0:1], v[0:1], v[6:7]
	v_fma_f64 v[10:11], v[2:3], v[4:5], v[0:1]
	v_add_co_u32 v4, vcc_lo, 0x12000, v122
	v_add_co_ci_u32_e32 v5, vcc_lo, 0, v123, vcc_lo
	ds_read_b128 v[0:3], v76 offset:15552
	global_load_dwordx4 v[4:7], v[4:5], off offset:144
	ds_write_b128 v76, v[8:11] offset:3888
	s_waitcnt vmcnt(0) lgkmcnt(1)
	v_mul_f64 v[8:9], v[2:3], v[6:7]
	v_fma_f64 v[8:9], v[0:1], v[4:5], -v[8:9]
	v_mul_f64 v[0:1], v[0:1], v[6:7]
	v_fma_f64 v[10:11], v[2:3], v[4:5], v[0:1]
	v_add_co_u32 v4, vcc_lo, 0x14800, v122
	v_add_co_ci_u32_e32 v5, vcc_lo, 0, v123, vcc_lo
	ds_read_b128 v[0:3], v76 offset:27216
	global_load_dwordx4 v[4:7], v[4:5], off offset:1568
	ds_write_b128 v76, v[8:11] offset:15552
	s_waitcnt vmcnt(0) lgkmcnt(1)
	v_mul_f64 v[8:9], v[2:3], v[6:7]
	v_fma_f64 v[8:9], v[0:1], v[4:5], -v[8:9]
	v_mul_f64 v[0:1], v[0:1], v[6:7]
	v_fma_f64 v[10:11], v[2:3], v[4:5], v[0:1]
	v_add_co_u32 v4, vcc_lo, 0x17800, v122
	v_add_co_ci_u32_e32 v5, vcc_lo, 0, v123, vcc_lo
	ds_read_b128 v[0:3], v76 offset:38880
	global_load_dwordx4 v[4:7], v[4:5], off offset:944
	ds_write_b128 v76, v[8:11] offset:27216
	s_waitcnt vmcnt(0) lgkmcnt(1)
	v_mul_f64 v[8:9], v[2:3], v[6:7]
	v_fma_f64 v[8:9], v[0:1], v[4:5], -v[8:9]
	v_mul_f64 v[0:1], v[0:1], v[6:7]
	v_fma_f64 v[10:11], v[2:3], v[4:5], v[0:1]
	v_add_co_u32 v4, vcc_lo, 0x1a800, v122
	v_add_co_ci_u32_e32 v5, vcc_lo, 0, v123, vcc_lo
	ds_read_b128 v[0:3], v76 offset:50544
	global_load_dwordx4 v[4:7], v[4:5], off offset:320
	ds_write_b128 v76, v[8:11] offset:38880
	s_waitcnt vmcnt(0) lgkmcnt(1)
	v_mul_f64 v[8:9], v[2:3], v[6:7]
	v_fma_f64 v[8:9], v[0:1], v[4:5], -v[8:9]
	v_mul_f64 v[0:1], v[0:1], v[6:7]
	v_fma_f64 v[10:11], v[2:3], v[4:5], v[0:1]
	v_add_co_u32 v4, vcc_lo, 0x10000, v122
	v_add_co_ci_u32_e32 v5, vcc_lo, 0, v123, vcc_lo
	ds_read_b128 v[0:3], v76 offset:7776
	global_load_dwordx4 v[4:7], v[4:5], off offset:560
	ds_write_b128 v76, v[8:11] offset:50544
	s_waitcnt vmcnt(0) lgkmcnt(1)
	v_mul_f64 v[8:9], v[2:3], v[6:7]
	v_fma_f64 v[8:9], v[0:1], v[4:5], -v[8:9]
	v_mul_f64 v[0:1], v[0:1], v[6:7]
	v_fma_f64 v[10:11], v[2:3], v[4:5], v[0:1]
	v_add_co_u32 v4, vcc_lo, 0x12800, v122
	v_add_co_ci_u32_e32 v5, vcc_lo, 0, v123, vcc_lo
	ds_read_b128 v[0:3], v76 offset:19440
	global_load_dwordx4 v[4:7], v[4:5], off offset:1984
	ds_write_b128 v76, v[8:11] offset:7776
	s_waitcnt vmcnt(0) lgkmcnt(1)
	v_mul_f64 v[8:9], v[2:3], v[6:7]
	v_fma_f64 v[8:9], v[0:1], v[4:5], -v[8:9]
	v_mul_f64 v[0:1], v[0:1], v[6:7]
	v_fma_f64 v[10:11], v[2:3], v[4:5], v[0:1]
	v_add_co_u32 v4, vcc_lo, 0x15800, v122
	v_add_co_ci_u32_e32 v5, vcc_lo, 0, v123, vcc_lo
	ds_read_b128 v[0:3], v76 offset:31104
	global_load_dwordx4 v[4:7], v[4:5], off offset:1360
	ds_write_b128 v76, v[8:11] offset:19440
	s_waitcnt vmcnt(0) lgkmcnt(1)
	v_mul_f64 v[8:9], v[2:3], v[6:7]
	v_fma_f64 v[8:9], v[0:1], v[4:5], -v[8:9]
	v_mul_f64 v[0:1], v[0:1], v[6:7]
	v_fma_f64 v[10:11], v[2:3], v[4:5], v[0:1]
	v_add_co_u32 v4, vcc_lo, 0x18800, v122
	v_add_co_ci_u32_e32 v5, vcc_lo, 0, v123, vcc_lo
	ds_read_b128 v[0:3], v76 offset:42768
	global_load_dwordx4 v[4:7], v[4:5], off offset:736
	ds_write_b128 v76, v[8:11] offset:31104
	s_waitcnt vmcnt(0) lgkmcnt(1)
	v_mul_f64 v[8:9], v[2:3], v[6:7]
	v_fma_f64 v[8:9], v[0:1], v[4:5], -v[8:9]
	v_mul_f64 v[0:1], v[0:1], v[6:7]
	v_fma_f64 v[10:11], v[2:3], v[4:5], v[0:1]
	v_add_co_u32 v4, vcc_lo, 0x1b800, v122
	v_add_co_ci_u32_e32 v5, vcc_lo, 0, v123, vcc_lo
	ds_read_b128 v[0:3], v76 offset:54432
	global_load_dwordx4 v[4:7], v[4:5], off offset:112
	ds_write_b128 v76, v[8:11] offset:42768
	s_waitcnt vmcnt(0) lgkmcnt(1)
	v_mul_f64 v[8:9], v[2:3], v[6:7]
	v_fma_f64 v[8:9], v[0:1], v[4:5], -v[8:9]
	v_mul_f64 v[0:1], v[0:1], v[6:7]
	v_fma_f64 v[10:11], v[2:3], v[4:5], v[0:1]
	ds_write_b128 v76, v[8:11] offset:54432
	s_waitcnt lgkmcnt(0)
	s_barrier
	buffer_gl0_inv
	ds_read_b128 v[40:43], v76
	ds_read_b128 v[44:47], v76 offset:11664
	ds_read_b128 v[48:51], v76 offset:23328
	;; [unrolled: 1-line block ×14, first 2 shown]
	s_waitcnt lgkmcnt(0)
	s_barrier
	buffer_gl0_inv
	v_add_f64 v[60:61], v[40:41], v[44:45]
	v_add_f64 v[68:69], v[44:45], -v[48:49]
	v_add_f64 v[66:67], v[50:51], -v[54:55]
	;; [unrolled: 1-line block ×4, first 2 shown]
	v_add_f64 v[60:61], v[60:61], v[48:49]
	v_add_f64 v[70:71], v[68:69], v[70:71]
	;; [unrolled: 1-line block ×5, first 2 shown]
	v_fma_f64 v[60:61], v[60:61], -0.5, v[40:41]
	v_fma_f64 v[64:65], v[62:63], s[18:19], v[60:61]
	v_fma_f64 v[60:61], v[62:63], s[6:7], v[60:61]
	;; [unrolled: 1-line block ×6, first 2 shown]
	v_add_f64 v[60:61], v[44:45], v[0:1]
	v_add_f64 v[64:65], v[48:49], -v[44:45]
	v_add_f64 v[70:71], v[52:53], -v[0:1]
	;; [unrolled: 1-line block ×5, first 2 shown]
	v_fma_f64 v[40:41], v[60:61], -0.5, v[40:41]
	v_add_f64 v[64:65], v[64:65], v[70:71]
	v_fma_f64 v[60:61], v[66:67], s[6:7], v[40:41]
	v_fma_f64 v[40:41], v[66:67], s[18:19], v[40:41]
	;; [unrolled: 1-line block ×4, first 2 shown]
	v_add_f64 v[62:63], v[2:3], -v[54:55]
	v_fma_f64 v[60:61], v[64:65], s[8:9], v[60:61]
	v_fma_f64 v[64:65], v[64:65], s[8:9], v[40:41]
	v_add_f64 v[40:41], v[42:43], v[46:47]
	v_add_f64 v[52:53], v[52:53], v[62:63]
	;; [unrolled: 1-line block ×6, first 2 shown]
	v_fma_f64 v[40:41], v[40:41], -0.5, v[42:43]
	v_fma_f64 v[44:45], v[0:1], s[6:7], v[40:41]
	v_fma_f64 v[40:41], v[0:1], s[18:19], v[40:41]
	;; [unrolled: 1-line block ×6, first 2 shown]
	v_add_f64 v[40:41], v[46:47], v[2:3]
	v_add_f64 v[44:45], v[50:51], -v[46:47]
	v_add_f64 v[2:3], v[54:55], -v[2:3]
	;; [unrolled: 1-line block ×3, first 2 shown]
	v_fma_f64 v[40:41], v[40:41], -0.5, v[42:43]
	v_add_f64 v[2:3], v[44:45], v[2:3]
	v_add_f64 v[44:45], v[8:9], -v[4:5]
	v_fma_f64 v[42:43], v[48:49], s[18:19], v[40:41]
	v_fma_f64 v[40:41], v[48:49], s[6:7], v[40:41]
	v_add_f64 v[46:47], v[44:45], v[46:47]
	v_fma_f64 v[42:43], v[0:1], s[16:17], v[42:43]
	v_fma_f64 v[0:1], v[0:1], s[14:15], v[40:41]
	;; [unrolled: 1-line block ×4, first 2 shown]
	v_add_f64 v[0:1], v[36:37], v[8:9]
	v_add_f64 v[2:3], v[10:11], -v[14:15]
	v_add_f64 v[42:43], v[6:7], -v[18:19]
	ds_write_b128 v121, v[72:75]
	ds_write_b128 v121, v[68:71] offset:16
	ds_write_b128 v121, v[60:63] offset:32
	ds_write_b128 v121, v[64:67] offset:48
	ds_write_b128 v121, v[77:80] offset:64
	v_add_f64 v[0:1], v[0:1], v[4:5]
	v_add_f64 v[0:1], v[0:1], v[16:17]
	;; [unrolled: 1-line block ×4, first 2 shown]
	v_fma_f64 v[0:1], v[0:1], -0.5, v[36:37]
	v_fma_f64 v[40:41], v[2:3], s[18:19], v[0:1]
	v_fma_f64 v[0:1], v[2:3], s[6:7], v[0:1]
	;; [unrolled: 1-line block ×6, first 2 shown]
	v_add_f64 v[0:1], v[8:9], v[12:13]
	v_add_f64 v[40:41], v[4:5], -v[8:9]
	v_add_f64 v[46:47], v[16:17], -v[12:13]
	;; [unrolled: 1-line block ×4, first 2 shown]
	v_fma_f64 v[0:1], v[0:1], -0.5, v[36:37]
	v_add_f64 v[40:41], v[40:41], v[46:47]
	v_fma_f64 v[36:37], v[42:43], s[6:7], v[0:1]
	v_fma_f64 v[0:1], v[42:43], s[18:19], v[0:1]
	;; [unrolled: 1-line block ×4, first 2 shown]
	v_add_f64 v[2:3], v[8:9], -v[12:13]
	v_add_f64 v[12:13], v[10:11], -v[6:7]
	v_fma_f64 v[36:37], v[40:41], s[8:9], v[36:37]
	v_fma_f64 v[40:41], v[40:41], s[8:9], v[0:1]
	v_add_f64 v[0:1], v[38:39], v[10:11]
	v_add_f64 v[12:13], v[12:13], v[16:17]
	v_add_f64 v[16:17], v[32:33], -v[28:29]
	v_add_f64 v[0:1], v[0:1], v[6:7]
	v_add_f64 v[0:1], v[0:1], v[18:19]
	;; [unrolled: 1-line block ×4, first 2 shown]
	v_add_f64 v[6:7], v[6:7], -v[10:11]
	v_fma_f64 v[0:1], v[0:1], -0.5, v[38:39]
	v_fma_f64 v[8:9], v[2:3], s[6:7], v[0:1]
	v_fma_f64 v[0:1], v[2:3], s[18:19], v[0:1]
	;; [unrolled: 1-line block ×6, first 2 shown]
	v_add_f64 v[0:1], v[10:11], v[14:15]
	v_add_f64 v[10:11], v[18:19], -v[14:15]
	v_add_f64 v[12:13], v[28:29], -v[32:33]
	;; [unrolled: 1-line block ×4, first 2 shown]
	v_fma_f64 v[0:1], v[0:1], -0.5, v[38:39]
	v_add_f64 v[6:7], v[6:7], v[10:11]
	v_add_f64 v[10:11], v[22:23], -v[34:35]
	v_add_f64 v[14:15], v[14:15], v[16:17]
	v_fma_f64 v[8:9], v[4:5], s[18:19], v[0:1]
	v_fma_f64 v[0:1], v[4:5], s[6:7], v[0:1]
	;; [unrolled: 1-line block ×4, first 2 shown]
	v_add_f64 v[2:3], v[26:27], -v[30:31]
	v_fma_f64 v[38:39], v[6:7], s[8:9], v[8:9]
	v_fma_f64 v[42:43], v[6:7], s[8:9], v[0:1]
	v_add_f64 v[0:1], v[56:57], v[24:25]
	v_add_f64 v[8:9], v[24:25], -v[20:21]
	v_add_f64 v[0:1], v[0:1], v[20:21]
	v_add_f64 v[12:13], v[8:9], v[12:13]
	;; [unrolled: 1-line block ×5, first 2 shown]
	v_add_f64 v[20:21], v[20:21], -v[32:33]
	v_fma_f64 v[0:1], v[0:1], -0.5, v[56:57]
	v_fma_f64 v[6:7], v[2:3], s[18:19], v[0:1]
	v_fma_f64 v[0:1], v[2:3], s[6:7], v[0:1]
	;; [unrolled: 1-line block ×5, first 2 shown]
	v_add_f64 v[6:7], v[24:25], v[28:29]
	v_fma_f64 v[0:1], v[12:13], s[8:9], v[0:1]
	v_fma_f64 v[6:7], v[6:7], -0.5, v[56:57]
	v_fma_f64 v[12:13], v[10:11], s[6:7], v[6:7]
	v_fma_f64 v[6:7], v[10:11], s[18:19], v[6:7]
	;; [unrolled: 1-line block ×6, first 2 shown]
	v_add_f64 v[2:3], v[58:59], v[26:27]
	v_add_f64 v[14:15], v[24:25], -v[28:29]
	v_add_f64 v[24:25], v[30:31], -v[34:35]
	v_add_f64 v[2:3], v[2:3], v[22:23]
	v_add_f64 v[18:19], v[18:19], v[24:25]
	;; [unrolled: 1-line block ×5, first 2 shown]
	v_add_f64 v[22:23], v[22:23], -v[26:27]
	v_fma_f64 v[2:3], v[2:3], -0.5, v[58:59]
	v_fma_f64 v[10:11], v[14:15], s[6:7], v[2:3]
	v_fma_f64 v[2:3], v[14:15], s[18:19], v[2:3]
	;; [unrolled: 1-line block ×6, first 2 shown]
	v_add_f64 v[18:19], v[26:27], v[30:31]
	v_add_f64 v[26:27], v[34:35], -v[30:31]
	v_fma_f64 v[24:25], v[18:19], -0.5, v[58:59]
	v_add_f64 v[22:23], v[22:23], v[26:27]
	v_fma_f64 v[18:19], v[20:21], s[18:19], v[24:25]
	v_fma_f64 v[20:21], v[20:21], s[6:7], v[24:25]
	;; [unrolled: 1-line block ×4, first 2 shown]
	buffer_load_dword v20, off, s[24:27], 0 offset:284 ; 4-byte Folded Reload
	s_waitcnt vmcnt(0)
	ds_write_b128 v20, v[48:51]
	ds_write_b128 v20, v[44:47] offset:16
	ds_write_b128 v20, v[36:39] offset:32
	;; [unrolled: 1-line block ×4, first 2 shown]
	buffer_load_dword v20, off, s[24:27], 0 offset:280 ; 4-byte Folded Reload
	v_fma_f64 v[18:19], v[22:23], s[8:9], v[18:19]
	v_fma_f64 v[14:15], v[22:23], s[8:9], v[14:15]
	s_waitcnt vmcnt(0)
	ds_write_b128 v20, v[4:7]
	ds_write_b128 v20, v[8:11] offset:16
	ds_write_b128 v20, v[16:19] offset:32
	;; [unrolled: 1-line block ×4, first 2 shown]
	s_waitcnt lgkmcnt(0)
	s_barrier
	buffer_gl0_inv
	ds_read_b128 v[0:3], v76
	ds_read_b128 v[4:7], v76 offset:19440
	ds_read_b128 v[8:11], v76 offset:38880
	;; [unrolled: 1-line block ×14, first 2 shown]
	s_clause 0x7
	buffer_load_dword v62, off, s[24:27], 0 offset:264
	buffer_load_dword v63, off, s[24:27], 0 offset:268
	;; [unrolled: 1-line block ×8, first 2 shown]
	s_waitcnt vmcnt(4) lgkmcnt(13)
	v_mul_f64 v[60:61], v[64:65], v[6:7]
	v_fma_f64 v[60:61], v[62:63], v[4:5], v[60:61]
	v_mul_f64 v[4:5], v[64:65], v[4:5]
	v_fma_f64 v[62:63], v[62:63], v[6:7], -v[4:5]
	s_waitcnt vmcnt(0) lgkmcnt(12)
	v_mul_f64 v[4:5], v[68:69], v[10:11]
	v_fma_f64 v[64:65], v[66:67], v[8:9], v[4:5]
	v_mul_f64 v[4:5], v[68:69], v[8:9]
	s_clause 0x3
	buffer_load_dword v6, off, s[24:27], 0 offset:304
	buffer_load_dword v7, off, s[24:27], 0 offset:308
	;; [unrolled: 1-line block ×4, first 2 shown]
	v_fma_f64 v[10:11], v[66:67], v[10:11], -v[4:5]
	s_waitcnt vmcnt(0) lgkmcnt(10)
	v_mul_f64 v[4:5], v[8:9], v[18:19]
	v_fma_f64 v[66:67], v[6:7], v[16:17], v[4:5]
	v_mul_f64 v[4:5], v[8:9], v[16:17]
	v_add_f64 v[16:17], v[60:61], -v[64:65]
	v_fma_f64 v[68:69], v[6:7], v[18:19], -v[4:5]
	s_clause 0x3
	buffer_load_dword v6, off, s[24:27], 0 offset:288
	buffer_load_dword v7, off, s[24:27], 0 offset:292
	buffer_load_dword v8, off, s[24:27], 0 offset:296
	buffer_load_dword v9, off, s[24:27], 0 offset:300
	s_waitcnt vmcnt(0) lgkmcnt(9)
	v_mul_f64 v[4:5], v[8:9], v[22:23]
	v_fma_f64 v[70:71], v[6:7], v[20:21], v[4:5]
	v_mul_f64 v[4:5], v[8:9], v[20:21]
	v_add_f64 v[18:19], v[66:67], v[70:71]
	v_fma_f64 v[22:23], v[6:7], v[22:23], -v[4:5]
	s_clause 0x3
	buffer_load_dword v6, off, s[24:27], 0 offset:320
	buffer_load_dword v7, off, s[24:27], 0 offset:324
	buffer_load_dword v8, off, s[24:27], 0 offset:328
	buffer_load_dword v9, off, s[24:27], 0 offset:332
	v_fma_f64 v[18:19], v[18:19], -0.5, v[12:13]
	v_add_f64 v[20:21], v[68:69], -v[22:23]
	s_waitcnt vmcnt(0) lgkmcnt(7)
	v_mul_f64 v[4:5], v[8:9], v[30:31]
	v_fma_f64 v[72:73], v[6:7], v[28:29], v[4:5]
	v_mul_f64 v[4:5], v[8:9], v[28:29]
	v_add_f64 v[28:29], v[66:67], -v[70:71]
	v_fma_f64 v[74:75], v[6:7], v[30:31], -v[4:5]
	s_clause 0x3
	buffer_load_dword v6, off, s[24:27], 0 offset:336
	buffer_load_dword v7, off, s[24:27], 0 offset:340
	buffer_load_dword v8, off, s[24:27], 0 offset:344
	buffer_load_dword v9, off, s[24:27], 0 offset:348
	s_waitcnt vmcnt(0) lgkmcnt(6)
	v_mul_f64 v[4:5], v[8:9], v[34:35]
	v_fma_f64 v[77:78], v[6:7], v[32:33], v[4:5]
	v_mul_f64 v[4:5], v[8:9], v[32:33]
	v_add_f64 v[30:31], v[72:73], v[77:78]
	v_fma_f64 v[34:35], v[6:7], v[34:35], -v[4:5]
	s_clause 0x3
	buffer_load_dword v6, off, s[24:27], 0 offset:368
	buffer_load_dword v7, off, s[24:27], 0 offset:372
	buffer_load_dword v8, off, s[24:27], 0 offset:376
	buffer_load_dword v9, off, s[24:27], 0 offset:380
	v_fma_f64 v[30:31], v[30:31], -0.5, v[24:25]
	v_add_f64 v[32:33], v[74:75], -v[34:35]
	;; [unrolled: 24-line block ×3, first 2 shown]
	s_waitcnt vmcnt(0) lgkmcnt(1)
	v_mul_f64 v[4:5], v[8:9], v[54:55]
	v_fma_f64 v[121:122], v[6:7], v[52:53], v[4:5]
	v_mul_f64 v[4:5], v[8:9], v[52:53]
	v_fma_f64 v[52:53], v[6:7], v[54:55], -v[4:5]
	s_clause 0x3
	buffer_load_dword v6, off, s[24:27], 0 offset:452
	buffer_load_dword v7, off, s[24:27], 0 offset:456
	;; [unrolled: 1-line block ×4, first 2 shown]
	s_waitcnt vmcnt(0) lgkmcnt(0)
	s_barrier
	buffer_gl0_inv
	v_mul_f64 v[4:5], v[8:9], v[58:59]
	v_fma_f64 v[54:55], v[6:7], v[56:57], v[4:5]
	v_mul_f64 v[4:5], v[8:9], v[56:57]
	v_add_f64 v[8:9], v[62:63], -v[10:11]
	v_add_f64 v[56:57], v[79:80], -v[119:120]
	v_fma_f64 v[58:59], v[6:7], v[58:59], -v[4:5]
	v_add_f64 v[6:7], v[60:61], v[64:65]
	v_add_f64 v[4:5], v[0:1], v[60:61]
	v_fma_f64 v[6:7], v[6:7], -0.5, v[0:1]
	v_add_f64 v[4:5], v[4:5], v[64:65]
	v_fma_f64 v[0:1], v[8:9], s[4:5], v[6:7]
	v_fma_f64 v[8:9], v[8:9], s[2:3], v[6:7]
	v_add_f64 v[6:7], v[2:3], v[62:63]
	v_add_f64 v[6:7], v[6:7], v[10:11]
	;; [unrolled: 1-line block ×3, first 2 shown]
	v_add_f64 v[62:63], v[52:53], -v[58:59]
	v_fma_f64 v[10:11], v[10:11], -0.5, v[2:3]
	v_fma_f64 v[2:3], v[16:17], s[2:3], v[10:11]
	v_fma_f64 v[10:11], v[16:17], s[4:5], v[10:11]
	v_add_f64 v[16:17], v[12:13], v[66:67]
	v_fma_f64 v[12:13], v[20:21], s[4:5], v[18:19]
	v_fma_f64 v[20:21], v[20:21], s[2:3], v[18:19]
	v_add_f64 v[18:19], v[14:15], v[68:69]
	v_add_f64 v[16:17], v[16:17], v[70:71]
	v_add_f64 v[18:19], v[18:19], v[22:23]
	v_add_f64 v[22:23], v[68:69], v[22:23]
	v_fma_f64 v[22:23], v[22:23], -0.5, v[14:15]
	v_fma_f64 v[14:15], v[28:29], s[2:3], v[22:23]
	v_fma_f64 v[22:23], v[28:29], s[4:5], v[22:23]
	v_add_f64 v[28:29], v[24:25], v[72:73]
	v_fma_f64 v[24:25], v[32:33], s[4:5], v[30:31]
	v_fma_f64 v[32:33], v[32:33], s[2:3], v[30:31]
	v_add_f64 v[30:31], v[26:27], v[74:75]
	v_add_f64 v[28:29], v[28:29], v[77:78]
	v_add_f64 v[30:31], v[30:31], v[34:35]
	v_add_f64 v[34:35], v[74:75], v[34:35]
	;; [unrolled: 10-line block ×3, first 2 shown]
	v_fma_f64 v[46:47], v[46:47], -0.5, v[38:39]
	v_fma_f64 v[38:39], v[56:57], s[2:3], v[46:47]
	v_fma_f64 v[46:47], v[56:57], s[4:5], v[46:47]
	v_add_f64 v[56:57], v[48:49], v[121:122]
	v_add_f64 v[60:61], v[56:57], v[54:55]
	;; [unrolled: 1-line block ×3, first 2 shown]
	v_add_f64 v[54:55], v[121:122], -v[54:55]
	v_fma_f64 v[56:57], v[56:57], -0.5, v[48:49]
	v_fma_f64 v[48:49], v[62:63], s[4:5], v[56:57]
	v_fma_f64 v[56:57], v[62:63], s[2:3], v[56:57]
	v_add_f64 v[62:63], v[50:51], v[52:53]
	v_add_f64 v[52:53], v[52:53], v[58:59]
	;; [unrolled: 1-line block ×3, first 2 shown]
	v_fma_f64 v[52:53], v[52:53], -0.5, v[50:51]
	v_fma_f64 v[50:51], v[54:55], s[2:3], v[52:53]
	v_fma_f64 v[58:59], v[54:55], s[4:5], v[52:53]
	buffer_load_dword v52, off, s[24:27], 0 offset:400 ; 4-byte Folded Reload
	s_waitcnt vmcnt(0)
	ds_write_b128 v52, v[4:7]
	ds_write_b128 v52, v[0:3] offset:80
	ds_write_b128 v52, v[8:11] offset:160
	buffer_load_dword v0, off, s[24:27], 0 offset:396 ; 4-byte Folded Reload
	s_waitcnt vmcnt(0)
	ds_write_b128 v0, v[16:19]
	ds_write_b128 v0, v[12:15] offset:80
	ds_write_b128 v0, v[20:23] offset:160
	;; [unrolled: 5-line block ×5, first 2 shown]
	s_waitcnt lgkmcnt(0)
	s_barrier
	buffer_gl0_inv
	ds_read_b128 v[0:3], v76
	ds_read_b128 v[4:7], v76 offset:19440
	ds_read_b128 v[8:11], v76 offset:38880
	;; [unrolled: 1-line block ×14, first 2 shown]
	s_clause 0x7
	buffer_load_dword v62, off, s[24:27], 0 offset:420
	buffer_load_dword v63, off, s[24:27], 0 offset:424
	;; [unrolled: 1-line block ×8, first 2 shown]
	s_waitcnt vmcnt(4) lgkmcnt(13)
	v_mul_f64 v[60:61], v[64:65], v[6:7]
	v_fma_f64 v[60:61], v[62:63], v[4:5], v[60:61]
	v_mul_f64 v[4:5], v[64:65], v[4:5]
	v_fma_f64 v[62:63], v[62:63], v[6:7], -v[4:5]
	s_waitcnt vmcnt(0) lgkmcnt(12)
	v_mul_f64 v[4:5], v[68:69], v[10:11]
	v_fma_f64 v[64:65], v[66:67], v[8:9], v[4:5]
	v_mul_f64 v[4:5], v[68:69], v[8:9]
	s_clause 0x3
	buffer_load_dword v6, off, s[24:27], 0 offset:484
	buffer_load_dword v7, off, s[24:27], 0 offset:488
	;; [unrolled: 1-line block ×4, first 2 shown]
	v_fma_f64 v[10:11], v[66:67], v[10:11], -v[4:5]
	s_waitcnt vmcnt(0) lgkmcnt(10)
	v_mul_f64 v[4:5], v[8:9], v[18:19]
	v_fma_f64 v[66:67], v[6:7], v[16:17], v[4:5]
	v_mul_f64 v[4:5], v[8:9], v[16:17]
	v_add_f64 v[16:17], v[60:61], -v[64:65]
	v_fma_f64 v[68:69], v[6:7], v[18:19], -v[4:5]
	s_clause 0x3
	buffer_load_dword v6, off, s[24:27], 0 offset:468
	buffer_load_dword v7, off, s[24:27], 0 offset:472
	;; [unrolled: 1-line block ×4, first 2 shown]
	s_waitcnt vmcnt(0) lgkmcnt(9)
	v_mul_f64 v[4:5], v[8:9], v[22:23]
	v_fma_f64 v[70:71], v[6:7], v[20:21], v[4:5]
	v_mul_f64 v[4:5], v[8:9], v[20:21]
	v_add_f64 v[18:19], v[66:67], v[70:71]
	v_fma_f64 v[22:23], v[6:7], v[22:23], -v[4:5]
	s_clause 0x3
	buffer_load_dword v6, off, s[24:27], 0 offset:504
	buffer_load_dword v7, off, s[24:27], 0 offset:508
	;; [unrolled: 1-line block ×4, first 2 shown]
	v_fma_f64 v[18:19], v[18:19], -0.5, v[12:13]
	v_add_f64 v[20:21], v[68:69], -v[22:23]
	s_waitcnt vmcnt(0) lgkmcnt(7)
	v_mul_f64 v[4:5], v[8:9], v[30:31]
	v_fma_f64 v[72:73], v[6:7], v[28:29], v[4:5]
	v_mul_f64 v[4:5], v[8:9], v[28:29]
	v_add_f64 v[28:29], v[66:67], -v[70:71]
	v_fma_f64 v[74:75], v[6:7], v[30:31], -v[4:5]
	s_clause 0x3
	buffer_load_dword v6, off, s[24:27], 0 offset:520
	buffer_load_dword v7, off, s[24:27], 0 offset:524
	;; [unrolled: 1-line block ×4, first 2 shown]
	s_waitcnt vmcnt(0) lgkmcnt(6)
	v_mul_f64 v[4:5], v[8:9], v[34:35]
	v_fma_f64 v[77:78], v[6:7], v[32:33], v[4:5]
	v_mul_f64 v[4:5], v[8:9], v[32:33]
	v_add_f64 v[30:31], v[72:73], v[77:78]
	v_fma_f64 v[34:35], v[6:7], v[34:35], -v[4:5]
	s_clause 0x3
	buffer_load_dword v6, off, s[24:27], 0 offset:556
	buffer_load_dword v7, off, s[24:27], 0 offset:560
	;; [unrolled: 1-line block ×4, first 2 shown]
	v_fma_f64 v[30:31], v[30:31], -0.5, v[24:25]
	v_add_f64 v[32:33], v[74:75], -v[34:35]
	s_waitcnt vmcnt(0) lgkmcnt(4)
	v_mul_f64 v[4:5], v[8:9], v[42:43]
	v_fma_f64 v[79:80], v[6:7], v[40:41], v[4:5]
	v_mul_f64 v[4:5], v[8:9], v[40:41]
	v_add_f64 v[40:41], v[72:73], -v[77:78]
	v_fma_f64 v[81:82], v[6:7], v[42:43], -v[4:5]
	s_clause 0x3
	buffer_load_dword v6, off, s[24:27], 0 offset:540
	buffer_load_dword v7, off, s[24:27], 0 offset:544
	;; [unrolled: 1-line block ×4, first 2 shown]
	s_waitcnt vmcnt(0) lgkmcnt(0)
	s_barrier
	buffer_gl0_inv
	v_mul_f64 v[4:5], v[8:9], v[46:47]
	v_fma_f64 v[119:120], v[6:7], v[44:45], v[4:5]
	v_mul_f64 v[4:5], v[8:9], v[44:45]
	v_add_f64 v[8:9], v[62:63], -v[10:11]
	v_add_f64 v[42:43], v[79:80], v[119:120]
	v_fma_f64 v[46:47], v[6:7], v[46:47], -v[4:5]
	v_mul_f64 v[4:5], v[146:147], v[54:55]
	v_add_f64 v[6:7], v[60:61], v[64:65]
	v_fma_f64 v[42:43], v[42:43], -0.5, v[36:37]
	v_add_f64 v[44:45], v[81:82], -v[46:47]
	v_fma_f64 v[121:122], v[144:145], v[52:53], v[4:5]
	v_mul_f64 v[4:5], v[146:147], v[52:53]
	v_fma_f64 v[6:7], v[6:7], -0.5, v[0:1]
	v_add_f64 v[52:53], v[79:80], -v[119:120]
	v_fma_f64 v[144:145], v[144:145], v[54:55], -v[4:5]
	v_mul_f64 v[4:5], v[142:143], v[58:59]
	v_fma_f64 v[146:147], v[140:141], v[56:57], v[4:5]
	v_mul_f64 v[4:5], v[142:143], v[56:57]
	v_add_f64 v[54:55], v[121:122], v[146:147]
	v_fma_f64 v[58:59], v[140:141], v[58:59], -v[4:5]
	v_add_f64 v[4:5], v[0:1], v[60:61]
	v_fma_f64 v[0:1], v[8:9], s[4:5], v[6:7]
	v_fma_f64 v[8:9], v[8:9], s[2:3], v[6:7]
	v_add_f64 v[6:7], v[2:3], v[62:63]
	v_add_f64 v[60:61], v[121:122], -v[146:147]
	v_fma_f64 v[54:55], v[54:55], -0.5, v[48:49]
	v_add_f64 v[56:57], v[144:145], -v[58:59]
	v_add_f64 v[4:5], v[4:5], v[64:65]
	v_add_f64 v[6:7], v[6:7], v[10:11]
	v_add_f64 v[10:11], v[62:63], v[10:11]
	v_fma_f64 v[10:11], v[10:11], -0.5, v[2:3]
	v_fma_f64 v[2:3], v[16:17], s[2:3], v[10:11]
	v_fma_f64 v[10:11], v[16:17], s[4:5], v[10:11]
	v_add_f64 v[16:17], v[12:13], v[66:67]
	v_fma_f64 v[12:13], v[20:21], s[4:5], v[18:19]
	v_fma_f64 v[20:21], v[20:21], s[2:3], v[18:19]
	v_add_f64 v[18:19], v[14:15], v[68:69]
	v_add_f64 v[16:17], v[16:17], v[70:71]
	v_add_f64 v[18:19], v[18:19], v[22:23]
	v_add_f64 v[22:23], v[68:69], v[22:23]
	v_fma_f64 v[22:23], v[22:23], -0.5, v[14:15]
	v_fma_f64 v[14:15], v[28:29], s[2:3], v[22:23]
	v_fma_f64 v[22:23], v[28:29], s[4:5], v[22:23]
	v_add_f64 v[28:29], v[24:25], v[72:73]
	v_fma_f64 v[24:25], v[32:33], s[4:5], v[30:31]
	v_fma_f64 v[32:33], v[32:33], s[2:3], v[30:31]
	v_add_f64 v[30:31], v[26:27], v[74:75]
	;; [unrolled: 10-line block ×4, first 2 shown]
	v_add_f64 v[52:53], v[52:53], v[146:147]
	v_add_f64 v[54:55], v[54:55], v[58:59]
	v_add_f64 v[58:59], v[144:145], v[58:59]
	v_fma_f64 v[58:59], v[58:59], -0.5, v[50:51]
	v_fma_f64 v[50:51], v[60:61], s[2:3], v[58:59]
	v_fma_f64 v[58:59], v[60:61], s[4:5], v[58:59]
	buffer_load_dword v60, off, s[24:27], 0 offset:580 ; 4-byte Folded Reload
	s_waitcnt vmcnt(0)
	ds_write_b128 v60, v[4:7]
	ds_write_b128 v60, v[0:3] offset:240
	ds_write_b128 v60, v[8:11] offset:480
	buffer_load_dword v0, off, s[24:27], 0 offset:576 ; 4-byte Folded Reload
	s_waitcnt vmcnt(0)
	ds_write_b128 v0, v[16:19]
	ds_write_b128 v0, v[12:15] offset:240
	ds_write_b128 v0, v[20:23] offset:480
	;; [unrolled: 5-line block ×5, first 2 shown]
	s_waitcnt lgkmcnt(0)
	s_barrier
	buffer_gl0_inv
	ds_read_b128 v[0:3], v76
	ds_read_b128 v[4:7], v76 offset:19440
	ds_read_b128 v[8:11], v76 offset:38880
	ds_read_b128 v[12:15], v76 offset:3888
	ds_read_b128 v[16:19], v76 offset:23328
	ds_read_b128 v[20:23], v76 offset:42768
	ds_read_b128 v[24:27], v76 offset:7776
	ds_read_b128 v[28:31], v76 offset:27216
	ds_read_b128 v[32:35], v76 offset:46656
	ds_read_b128 v[36:39], v76 offset:11664
	ds_read_b128 v[40:43], v76 offset:31104
	ds_read_b128 v[44:47], v76 offset:50544
	ds_read_b128 v[48:51], v76 offset:15552
	ds_read_b128 v[52:55], v76 offset:34992
	ds_read_b128 v[56:59], v76 offset:54432
	s_waitcnt lgkmcnt(0)
	s_barrier
	buffer_gl0_inv
	v_mul_f64 v[60:61], v[138:139], v[6:7]
	v_fma_f64 v[60:61], v[136:137], v[4:5], v[60:61]
	v_mul_f64 v[4:5], v[138:139], v[4:5]
	v_fma_f64 v[62:63], v[136:137], v[6:7], -v[4:5]
	v_mul_f64 v[4:5], v[134:135], v[10:11]
	v_fma_f64 v[64:65], v[132:133], v[8:9], v[4:5]
	v_mul_f64 v[4:5], v[134:135], v[8:9]
	v_add_f64 v[6:7], v[60:61], v[64:65]
	v_fma_f64 v[10:11], v[132:133], v[10:11], -v[4:5]
	v_mul_f64 v[4:5], v[154:155], v[18:19]
	v_fma_f64 v[6:7], v[6:7], -0.5, v[0:1]
	v_add_f64 v[8:9], v[62:63], -v[10:11]
	v_fma_f64 v[66:67], v[152:153], v[16:17], v[4:5]
	v_mul_f64 v[4:5], v[154:155], v[16:17]
	v_add_f64 v[16:17], v[60:61], -v[64:65]
	v_fma_f64 v[68:69], v[152:153], v[18:19], -v[4:5]
	v_mul_f64 v[4:5], v[150:151], v[22:23]
	v_fma_f64 v[70:71], v[148:149], v[20:21], v[4:5]
	v_mul_f64 v[4:5], v[150:151], v[20:21]
	v_add_f64 v[18:19], v[66:67], v[70:71]
	v_fma_f64 v[22:23], v[148:149], v[22:23], -v[4:5]
	v_mul_f64 v[4:5], v[162:163], v[30:31]
	v_fma_f64 v[18:19], v[18:19], -0.5, v[12:13]
	v_add_f64 v[20:21], v[68:69], -v[22:23]
	v_fma_f64 v[72:73], v[160:161], v[28:29], v[4:5]
	v_mul_f64 v[4:5], v[162:163], v[28:29]
	v_add_f64 v[28:29], v[66:67], -v[70:71]
	;; [unrolled: 12-line block ×4, first 2 shown]
	v_fma_f64 v[132:133], v[176:177], v[54:55], -v[4:5]
	v_mul_f64 v[4:5], v[174:175], v[58:59]
	v_fma_f64 v[134:135], v[172:173], v[56:57], v[4:5]
	v_mul_f64 v[4:5], v[174:175], v[56:57]
	v_add_f64 v[54:55], v[121:122], v[134:135]
	v_fma_f64 v[58:59], v[172:173], v[58:59], -v[4:5]
	v_add_f64 v[4:5], v[0:1], v[60:61]
	v_fma_f64 v[0:1], v[8:9], s[4:5], v[6:7]
	v_fma_f64 v[8:9], v[8:9], s[2:3], v[6:7]
	v_add_f64 v[6:7], v[2:3], v[62:63]
	v_add_f64 v[60:61], v[121:122], -v[134:135]
	v_fma_f64 v[54:55], v[54:55], -0.5, v[48:49]
	v_add_f64 v[56:57], v[132:133], -v[58:59]
	v_add_f64 v[4:5], v[4:5], v[64:65]
	v_add_f64 v[6:7], v[6:7], v[10:11]
	v_add_f64 v[10:11], v[62:63], v[10:11]
	v_fma_f64 v[10:11], v[10:11], -0.5, v[2:3]
	v_fma_f64 v[2:3], v[16:17], s[2:3], v[10:11]
	v_fma_f64 v[10:11], v[16:17], s[4:5], v[10:11]
	v_add_f64 v[16:17], v[12:13], v[66:67]
	v_fma_f64 v[12:13], v[20:21], s[4:5], v[18:19]
	v_fma_f64 v[20:21], v[20:21], s[2:3], v[18:19]
	v_add_f64 v[18:19], v[14:15], v[68:69]
	v_add_f64 v[16:17], v[16:17], v[70:71]
	v_add_f64 v[18:19], v[18:19], v[22:23]
	v_add_f64 v[22:23], v[68:69], v[22:23]
	v_fma_f64 v[22:23], v[22:23], -0.5, v[14:15]
	v_fma_f64 v[14:15], v[28:29], s[2:3], v[22:23]
	v_fma_f64 v[22:23], v[28:29], s[4:5], v[22:23]
	v_add_f64 v[28:29], v[24:25], v[72:73]
	v_fma_f64 v[24:25], v[32:33], s[4:5], v[30:31]
	v_fma_f64 v[32:33], v[32:33], s[2:3], v[30:31]
	v_add_f64 v[30:31], v[26:27], v[74:75]
	;; [unrolled: 10-line block ×4, first 2 shown]
	v_add_f64 v[52:53], v[52:53], v[134:135]
	v_add_f64 v[54:55], v[54:55], v[58:59]
	;; [unrolled: 1-line block ×3, first 2 shown]
	v_fma_f64 v[58:59], v[58:59], -0.5, v[50:51]
	v_fma_f64 v[50:51], v[60:61], s[2:3], v[58:59]
	v_fma_f64 v[58:59], v[60:61], s[4:5], v[58:59]
	buffer_load_dword v60, off, s[24:27], 0 offset:604 ; 4-byte Folded Reload
	s_waitcnt vmcnt(0)
	ds_write_b128 v60, v[4:7]
	ds_write_b128 v60, v[0:3] offset:720
	ds_write_b128 v60, v[8:11] offset:1440
	buffer_load_dword v0, off, s[24:27], 0 offset:600 ; 4-byte Folded Reload
	s_waitcnt vmcnt(0)
	ds_write_b128 v0, v[16:19]
	ds_write_b128 v0, v[12:15] offset:720
	ds_write_b128 v0, v[20:23] offset:1440
	;; [unrolled: 5-line block ×5, first 2 shown]
	s_waitcnt lgkmcnt(0)
	s_barrier
	buffer_gl0_inv
	ds_read_b128 v[0:3], v76
	ds_read_b128 v[4:7], v76 offset:19440
	ds_read_b128 v[8:11], v76 offset:38880
	;; [unrolled: 1-line block ×14, first 2 shown]
	s_waitcnt lgkmcnt(0)
	s_barrier
	buffer_gl0_inv
	v_mul_f64 v[60:61], v[186:187], v[6:7]
	v_fma_f64 v[60:61], v[184:185], v[4:5], v[60:61]
	v_mul_f64 v[4:5], v[186:187], v[4:5]
	v_fma_f64 v[62:63], v[184:185], v[6:7], -v[4:5]
	v_mul_f64 v[4:5], v[182:183], v[10:11]
	v_fma_f64 v[64:65], v[180:181], v[8:9], v[4:5]
	v_mul_f64 v[4:5], v[182:183], v[8:9]
	v_add_f64 v[6:7], v[60:61], v[64:65]
	v_fma_f64 v[10:11], v[180:181], v[10:11], -v[4:5]
	v_mul_f64 v[4:5], v[194:195], v[18:19]
	v_fma_f64 v[6:7], v[6:7], -0.5, v[0:1]
	v_add_f64 v[8:9], v[62:63], -v[10:11]
	v_fma_f64 v[66:67], v[192:193], v[16:17], v[4:5]
	v_mul_f64 v[4:5], v[194:195], v[16:17]
	v_add_f64 v[16:17], v[60:61], -v[64:65]
	v_fma_f64 v[68:69], v[192:193], v[18:19], -v[4:5]
	v_mul_f64 v[4:5], v[190:191], v[22:23]
	v_fma_f64 v[70:71], v[188:189], v[20:21], v[4:5]
	v_mul_f64 v[4:5], v[190:191], v[20:21]
	v_add_f64 v[18:19], v[66:67], v[70:71]
	v_fma_f64 v[22:23], v[188:189], v[22:23], -v[4:5]
	v_mul_f64 v[4:5], v[202:203], v[30:31]
	v_fma_f64 v[18:19], v[18:19], -0.5, v[12:13]
	v_add_f64 v[20:21], v[68:69], -v[22:23]
	v_fma_f64 v[72:73], v[200:201], v[28:29], v[4:5]
	v_mul_f64 v[4:5], v[202:203], v[28:29]
	v_add_f64 v[28:29], v[66:67], -v[70:71]
	;; [unrolled: 12-line block ×4, first 2 shown]
	v_fma_f64 v[132:133], v[216:217], v[54:55], -v[4:5]
	v_mul_f64 v[4:5], v[214:215], v[58:59]
	v_fma_f64 v[134:135], v[212:213], v[56:57], v[4:5]
	v_mul_f64 v[4:5], v[214:215], v[56:57]
	v_add_f64 v[54:55], v[121:122], v[134:135]
	v_fma_f64 v[58:59], v[212:213], v[58:59], -v[4:5]
	v_add_f64 v[4:5], v[0:1], v[60:61]
	v_fma_f64 v[0:1], v[8:9], s[4:5], v[6:7]
	v_fma_f64 v[8:9], v[8:9], s[2:3], v[6:7]
	v_add_f64 v[6:7], v[2:3], v[62:63]
	v_add_f64 v[60:61], v[121:122], -v[134:135]
	v_fma_f64 v[54:55], v[54:55], -0.5, v[48:49]
	v_add_f64 v[56:57], v[132:133], -v[58:59]
	v_add_f64 v[4:5], v[4:5], v[64:65]
	v_add_f64 v[6:7], v[6:7], v[10:11]
	v_add_f64 v[10:11], v[62:63], v[10:11]
	v_fma_f64 v[10:11], v[10:11], -0.5, v[2:3]
	v_fma_f64 v[2:3], v[16:17], s[2:3], v[10:11]
	v_fma_f64 v[10:11], v[16:17], s[4:5], v[10:11]
	v_add_f64 v[16:17], v[12:13], v[66:67]
	v_fma_f64 v[12:13], v[20:21], s[4:5], v[18:19]
	v_fma_f64 v[20:21], v[20:21], s[2:3], v[18:19]
	v_add_f64 v[18:19], v[14:15], v[68:69]
	v_add_f64 v[16:17], v[16:17], v[70:71]
	v_add_f64 v[18:19], v[18:19], v[22:23]
	v_add_f64 v[22:23], v[68:69], v[22:23]
	v_fma_f64 v[22:23], v[22:23], -0.5, v[14:15]
	v_fma_f64 v[14:15], v[28:29], s[2:3], v[22:23]
	v_fma_f64 v[22:23], v[28:29], s[4:5], v[22:23]
	v_add_f64 v[28:29], v[24:25], v[72:73]
	v_fma_f64 v[24:25], v[32:33], s[4:5], v[30:31]
	v_fma_f64 v[32:33], v[32:33], s[2:3], v[30:31]
	v_add_f64 v[30:31], v[26:27], v[74:75]
	;; [unrolled: 10-line block ×4, first 2 shown]
	v_add_f64 v[52:53], v[52:53], v[134:135]
	v_add_f64 v[54:55], v[54:55], v[58:59]
	;; [unrolled: 1-line block ×3, first 2 shown]
	v_fma_f64 v[58:59], v[58:59], -0.5, v[50:51]
	v_fma_f64 v[50:51], v[60:61], s[2:3], v[58:59]
	v_fma_f64 v[58:59], v[60:61], s[4:5], v[58:59]
	buffer_load_dword v60, off, s[24:27], 0 offset:624 ; 4-byte Folded Reload
	s_waitcnt vmcnt(0)
	ds_write_b128 v60, v[4:7]
	ds_write_b128 v60, v[0:3] offset:2160
	ds_write_b128 v60, v[8:11] offset:4320
	buffer_load_dword v0, off, s[24:27], 0 offset:620 ; 4-byte Folded Reload
	s_waitcnt vmcnt(0)
	ds_write_b128 v0, v[16:19]
	ds_write_b128 v0, v[12:15] offset:2160
	ds_write_b128 v0, v[20:23] offset:4320
	;; [unrolled: 5-line block ×5, first 2 shown]
	s_waitcnt lgkmcnt(0)
	s_barrier
	buffer_gl0_inv
	ds_read_b128 v[0:3], v76
	ds_read_b128 v[4:7], v76 offset:19440
	ds_read_b128 v[8:11], v76 offset:38880
	;; [unrolled: 1-line block ×14, first 2 shown]
	s_waitcnt lgkmcnt(0)
	s_barrier
	buffer_gl0_inv
	v_mul_f64 v[60:61], v[226:227], v[6:7]
	v_fma_f64 v[60:61], v[224:225], v[4:5], v[60:61]
	v_mul_f64 v[4:5], v[226:227], v[4:5]
	v_fma_f64 v[62:63], v[224:225], v[6:7], -v[4:5]
	v_mul_f64 v[4:5], v[222:223], v[10:11]
	v_fma_f64 v[64:65], v[220:221], v[8:9], v[4:5]
	v_mul_f64 v[4:5], v[222:223], v[8:9]
	v_add_f64 v[6:7], v[60:61], v[64:65]
	v_fma_f64 v[10:11], v[220:221], v[10:11], -v[4:5]
	v_mul_f64 v[4:5], v[234:235], v[18:19]
	v_fma_f64 v[6:7], v[6:7], -0.5, v[0:1]
	v_add_f64 v[8:9], v[62:63], -v[10:11]
	v_fma_f64 v[66:67], v[232:233], v[16:17], v[4:5]
	v_mul_f64 v[4:5], v[234:235], v[16:17]
	v_add_f64 v[16:17], v[60:61], -v[64:65]
	v_fma_f64 v[68:69], v[232:233], v[18:19], -v[4:5]
	v_mul_f64 v[4:5], v[230:231], v[22:23]
	v_fma_f64 v[70:71], v[228:229], v[20:21], v[4:5]
	v_mul_f64 v[4:5], v[230:231], v[20:21]
	v_add_f64 v[18:19], v[66:67], v[70:71]
	v_fma_f64 v[22:23], v[228:229], v[22:23], -v[4:5]
	v_mul_f64 v[4:5], v[242:243], v[30:31]
	v_fma_f64 v[18:19], v[18:19], -0.5, v[12:13]
	v_add_f64 v[20:21], v[68:69], -v[22:23]
	v_fma_f64 v[72:73], v[240:241], v[28:29], v[4:5]
	v_mul_f64 v[4:5], v[242:243], v[28:29]
	v_add_f64 v[28:29], v[66:67], -v[70:71]
	;; [unrolled: 12-line block ×4, first 2 shown]
	v_fma_f64 v[128:129], v[128:129], v[54:55], -v[4:5]
	v_mul_f64 v[4:5], v[254:255], v[58:59]
	v_fma_f64 v[130:131], v[252:253], v[56:57], v[4:5]
	v_mul_f64 v[4:5], v[254:255], v[56:57]
	v_add_f64 v[54:55], v[121:122], v[130:131]
	v_fma_f64 v[58:59], v[252:253], v[58:59], -v[4:5]
	v_add_f64 v[4:5], v[0:1], v[60:61]
	v_fma_f64 v[0:1], v[8:9], s[4:5], v[6:7]
	v_fma_f64 v[8:9], v[8:9], s[2:3], v[6:7]
	v_add_f64 v[6:7], v[2:3], v[62:63]
	v_add_f64 v[60:61], v[121:122], -v[130:131]
	v_fma_f64 v[54:55], v[54:55], -0.5, v[48:49]
	v_add_f64 v[56:57], v[128:129], -v[58:59]
	v_add_f64 v[4:5], v[4:5], v[64:65]
	v_add_f64 v[6:7], v[6:7], v[10:11]
	;; [unrolled: 1-line block ×3, first 2 shown]
	v_fma_f64 v[10:11], v[10:11], -0.5, v[2:3]
	v_fma_f64 v[2:3], v[16:17], s[2:3], v[10:11]
	v_fma_f64 v[10:11], v[16:17], s[4:5], v[10:11]
	ds_write_b128 v76, v[4:7]
	ds_write_b128 v76, v[0:3] offset:6480
	ds_write_b128 v76, v[8:11] offset:12960
	buffer_load_dword v0, off, s[24:27], 0 offset:636 ; 4-byte Folded Reload
	v_add_f64 v[16:17], v[12:13], v[66:67]
	v_fma_f64 v[12:13], v[20:21], s[4:5], v[18:19]
	v_fma_f64 v[20:21], v[20:21], s[2:3], v[18:19]
	v_add_f64 v[18:19], v[14:15], v[68:69]
	v_add_f64 v[16:17], v[16:17], v[70:71]
	;; [unrolled: 1-line block ×4, first 2 shown]
	v_fma_f64 v[22:23], v[22:23], -0.5, v[14:15]
	v_fma_f64 v[14:15], v[28:29], s[2:3], v[22:23]
	v_fma_f64 v[22:23], v[28:29], s[4:5], v[22:23]
	v_add_f64 v[28:29], v[24:25], v[72:73]
	v_fma_f64 v[24:25], v[32:33], s[4:5], v[30:31]
	v_fma_f64 v[32:33], v[32:33], s[2:3], v[30:31]
	v_add_f64 v[30:31], v[26:27], v[74:75]
	v_add_f64 v[28:29], v[28:29], v[77:78]
	v_add_f64 v[30:31], v[30:31], v[34:35]
	v_add_f64 v[34:35], v[74:75], v[34:35]
	v_fma_f64 v[34:35], v[34:35], -0.5, v[26:27]
	v_fma_f64 v[26:27], v[40:41], s[2:3], v[34:35]
	v_fma_f64 v[34:35], v[40:41], s[4:5], v[34:35]
	s_waitcnt vmcnt(0)
	ds_write_b128 v0, v[16:19]
	ds_write_b128 v0, v[12:15] offset:6480
	ds_write_b128 v0, v[20:23] offset:12960
	;; [unrolled: 1-line block ×5, first 2 shown]
	buffer_load_dword v0, off, s[24:27], 0 offset:632 ; 4-byte Folded Reload
	v_add_f64 v[40:41], v[36:37], v[79:80]
	v_fma_f64 v[36:37], v[44:45], s[4:5], v[42:43]
	v_fma_f64 v[44:45], v[44:45], s[2:3], v[42:43]
	v_add_f64 v[42:43], v[38:39], v[81:82]
	v_add_f64 v[40:41], v[40:41], v[119:120]
	;; [unrolled: 1-line block ×4, first 2 shown]
	v_fma_f64 v[46:47], v[46:47], -0.5, v[38:39]
	v_fma_f64 v[38:39], v[52:53], s[2:3], v[46:47]
	v_fma_f64 v[46:47], v[52:53], s[4:5], v[46:47]
	s_waitcnt vmcnt(0)
	ds_write_b128 v0, v[40:43]
	ds_write_b128 v0, v[36:39] offset:6480
	ds_write_b128 v0, v[44:47] offset:12960
	buffer_load_dword v0, off, s[24:27], 0 offset:628 ; 4-byte Folded Reload
	v_add_f64 v[52:53], v[48:49], v[121:122]
	v_fma_f64 v[48:49], v[56:57], s[4:5], v[54:55]
	v_fma_f64 v[56:57], v[56:57], s[2:3], v[54:55]
	v_add_f64 v[54:55], v[50:51], v[128:129]
	v_add_f64 v[52:53], v[52:53], v[130:131]
	v_add_f64 v[54:55], v[54:55], v[58:59]
	v_add_f64 v[58:59], v[128:129], v[58:59]
	v_fma_f64 v[58:59], v[58:59], -0.5, v[50:51]
	v_fma_f64 v[50:51], v[60:61], s[2:3], v[58:59]
	v_fma_f64 v[58:59], v[60:61], s[4:5], v[58:59]
	s_waitcnt vmcnt(0)
	ds_write_b128 v0, v[52:55] offset:38880
	ds_write_b128 v0, v[48:51] offset:45360
	;; [unrolled: 1-line block ×3, first 2 shown]
	s_waitcnt lgkmcnt(0)
	s_barrier
	buffer_gl0_inv
	ds_read_b128 v[0:3], v76
	ds_read_b128 v[4:7], v76 offset:19440
	ds_read_b128 v[8:11], v76 offset:38880
	;; [unrolled: 1-line block ×14, first 2 shown]
	s_waitcnt lgkmcnt(13)
	v_mul_f64 v[60:61], v[117:118], v[6:7]
	v_fma_f64 v[60:61], v[115:116], v[4:5], v[60:61]
	v_mul_f64 v[4:5], v[117:118], v[4:5]
	v_fma_f64 v[62:63], v[115:116], v[6:7], -v[4:5]
	s_waitcnt lgkmcnt(12)
	v_mul_f64 v[4:5], v[126:127], v[10:11]
	v_fma_f64 v[64:65], v[124:125], v[8:9], v[4:5]
	v_mul_f64 v[4:5], v[126:127], v[8:9]
	v_add_f64 v[6:7], v[60:61], v[64:65]
	v_fma_f64 v[10:11], v[124:125], v[10:11], -v[4:5]
	s_waitcnt lgkmcnt(10)
	v_mul_f64 v[4:5], v[109:110], v[18:19]
	v_fma_f64 v[6:7], v[6:7], -0.5, v[0:1]
	v_add_f64 v[8:9], v[62:63], -v[10:11]
	v_fma_f64 v[66:67], v[107:108], v[16:17], v[4:5]
	v_mul_f64 v[4:5], v[109:110], v[16:17]
	v_add_f64 v[16:17], v[60:61], -v[64:65]
	v_fma_f64 v[68:69], v[107:108], v[18:19], -v[4:5]
	s_waitcnt lgkmcnt(9)
	v_mul_f64 v[4:5], v[113:114], v[22:23]
	v_fma_f64 v[70:71], v[111:112], v[20:21], v[4:5]
	v_mul_f64 v[4:5], v[113:114], v[20:21]
	v_add_f64 v[18:19], v[66:67], v[70:71]
	v_fma_f64 v[22:23], v[111:112], v[22:23], -v[4:5]
	s_waitcnt lgkmcnt(7)
	v_mul_f64 v[4:5], v[101:102], v[30:31]
	v_fma_f64 v[18:19], v[18:19], -0.5, v[12:13]
	v_add_f64 v[20:21], v[68:69], -v[22:23]
	v_fma_f64 v[72:73], v[99:100], v[28:29], v[4:5]
	v_mul_f64 v[4:5], v[101:102], v[28:29]
	v_add_f64 v[28:29], v[66:67], -v[70:71]
	;; [unrolled: 14-line block ×4, first 2 shown]
	v_fma_f64 v[83:84], v[83:84], v[54:55], -v[4:5]
	s_waitcnt lgkmcnt(0)
	v_mul_f64 v[4:5], v[89:90], v[58:59]
	v_fma_f64 v[85:86], v[87:88], v[56:57], v[4:5]
	v_mul_f64 v[4:5], v[89:90], v[56:57]
	v_add_f64 v[54:55], v[93:94], v[85:86]
	v_fma_f64 v[58:59], v[87:88], v[58:59], -v[4:5]
	v_add_f64 v[4:5], v[0:1], v[60:61]
	v_fma_f64 v[0:1], v[8:9], s[4:5], v[6:7]
	v_fma_f64 v[8:9], v[8:9], s[2:3], v[6:7]
	v_add_f64 v[6:7], v[2:3], v[62:63]
	v_add_f64 v[60:61], v[93:94], -v[85:86]
	v_fma_f64 v[54:55], v[54:55], -0.5, v[48:49]
	v_add_f64 v[56:57], v[83:84], -v[58:59]
	v_add_f64 v[4:5], v[4:5], v[64:65]
	v_add_f64 v[6:7], v[6:7], v[10:11]
	v_add_f64 v[10:11], v[62:63], v[10:11]
	v_fma_f64 v[10:11], v[10:11], -0.5, v[2:3]
	v_fma_f64 v[2:3], v[16:17], s[2:3], v[10:11]
	v_fma_f64 v[10:11], v[16:17], s[4:5], v[10:11]
	v_add_f64 v[16:17], v[12:13], v[66:67]
	v_fma_f64 v[12:13], v[20:21], s[4:5], v[18:19]
	v_fma_f64 v[20:21], v[20:21], s[2:3], v[18:19]
	v_add_f64 v[18:19], v[14:15], v[68:69]
	v_add_f64 v[16:17], v[16:17], v[70:71]
	v_add_f64 v[18:19], v[18:19], v[22:23]
	v_add_f64 v[22:23], v[68:69], v[22:23]
	v_fma_f64 v[22:23], v[22:23], -0.5, v[14:15]
	v_fma_f64 v[14:15], v[28:29], s[2:3], v[22:23]
	v_fma_f64 v[22:23], v[28:29], s[4:5], v[22:23]
	v_add_f64 v[28:29], v[24:25], v[72:73]
	v_fma_f64 v[24:25], v[32:33], s[4:5], v[30:31]
	v_fma_f64 v[32:33], v[32:33], s[2:3], v[30:31]
	v_add_f64 v[30:31], v[26:27], v[74:75]
	;; [unrolled: 10-line block ×4, first 2 shown]
	v_add_f64 v[52:53], v[52:53], v[85:86]
	v_add_f64 v[54:55], v[54:55], v[58:59]
	;; [unrolled: 1-line block ×3, first 2 shown]
	v_fma_f64 v[58:59], v[58:59], -0.5, v[50:51]
	v_fma_f64 v[50:51], v[60:61], s[2:3], v[58:59]
	v_fma_f64 v[58:59], v[60:61], s[4:5], v[58:59]
	ds_write_b128 v76, v[4:7]
	ds_write_b128 v76, v[0:3] offset:19440
	ds_write_b128 v76, v[8:11] offset:38880
	;; [unrolled: 1-line block ×14, first 2 shown]
	s_waitcnt lgkmcnt(0)
	s_barrier
	buffer_gl0_inv
	ds_read_b128 v[0:3], v76
	s_clause 0x3
	buffer_load_dword v8, off, s[24:27], 0 offset:216
	buffer_load_dword v9, off, s[24:27], 0 offset:220
	;; [unrolled: 1-line block ×4, first 2 shown]
	s_mov_b32 s2, 0x8098d3d3
	s_mov_b32 s3, 0x3f31facd
	s_mul_i32 s4, s1, 0x2d90
	s_mul_hi_u32 s5, s0, 0x2d90
	s_add_i32 s4, s5, s4
	s_mul_i32 s5, s0, 0x2d90
	s_waitcnt vmcnt(0) lgkmcnt(0)
	v_mul_f64 v[4:5], v[10:11], v[2:3]
	v_fma_f64 v[4:5], v[8:9], v[0:1], v[4:5]
	v_mul_f64 v[0:1], v[10:11], v[0:1]
	v_mul_f64 v[6:7], v[4:5], s[2:3]
	v_fma_f64 v[0:1], v[8:9], v[2:3], -v[0:1]
	buffer_load_dword v2, off, s[24:27], 0 offset:588 ; 4-byte Folded Reload
	v_mul_f64 v[8:9], v[0:1], s[2:3]
	s_waitcnt vmcnt(0)
	v_mad_u64_u32 v[0:1], null, s0, v2, 0
	v_mad_u64_u32 v[1:2], null, s1, v2, v[1:2]
	s_clause 0x1
	buffer_load_dword v2, off, s[24:27], 0 offset:208
	buffer_load_dword v3, off, s[24:27], 0 offset:212
	s_mul_i32 s1, s1, 0xffff58f0
	s_sub_i32 s1, s1, s0
	v_lshlrev_b64 v[0:1], 4, v[0:1]
	s_waitcnt vmcnt(0)
	v_lshlrev_b64 v[2:3], 4, v[2:3]
	v_add_co_u32 v2, vcc_lo, s12, v2
	v_add_co_ci_u32_e32 v3, vcc_lo, s13, v3, vcc_lo
	v_add_co_u32 v4, vcc_lo, v2, v0
	v_add_co_ci_u32_e32 v5, vcc_lo, v3, v1, vcc_lo
	global_store_dwordx4 v[4:5], v[6:9], off
	ds_read_b128 v[6:9], v76 offset:11664
	s_clause 0x3
	buffer_load_dword v10, off, s[24:27], 0 offset:232
	buffer_load_dword v11, off, s[24:27], 0 offset:236
	;; [unrolled: 1-line block ×4, first 2 shown]
	s_waitcnt vmcnt(0) lgkmcnt(0)
	v_mul_f64 v[0:1], v[12:13], v[8:9]
	v_mul_f64 v[2:3], v[12:13], v[6:7]
	v_fma_f64 v[0:1], v[10:11], v[6:7], v[0:1]
	v_fma_f64 v[2:3], v[10:11], v[8:9], -v[2:3]
	v_add_co_u32 v8, vcc_lo, v4, s5
	v_add_co_ci_u32_e32 v9, vcc_lo, s4, v5, vcc_lo
	v_mul_f64 v[0:1], v[0:1], s[2:3]
	v_mul_f64 v[2:3], v[2:3], s[2:3]
	global_store_dwordx4 v[8:9], v[0:3], off
	ds_read_b128 v[0:3], v76 offset:23328
	s_clause 0x3
	buffer_load_dword v10, off, s[24:27], 0 offset:80
	buffer_load_dword v11, off, s[24:27], 0 offset:84
	buffer_load_dword v12, off, s[24:27], 0 offset:88
	buffer_load_dword v13, off, s[24:27], 0 offset:92
	v_add_co_u32 v8, vcc_lo, v8, s5
	v_add_co_ci_u32_e32 v9, vcc_lo, s4, v9, vcc_lo
	s_waitcnt vmcnt(0) lgkmcnt(0)
	v_mul_f64 v[4:5], v[12:13], v[2:3]
	v_fma_f64 v[4:5], v[10:11], v[0:1], v[4:5]
	v_mul_f64 v[0:1], v[12:13], v[0:1]
	v_mul_f64 v[4:5], v[4:5], s[2:3]
	v_fma_f64 v[0:1], v[10:11], v[2:3], -v[0:1]
	v_mul_f64 v[6:7], v[0:1], s[2:3]
	ds_read_b128 v[0:3], v76 offset:34992
	global_store_dwordx4 v[8:9], v[4:7], off
	s_clause 0x3
	buffer_load_dword v10, off, s[24:27], 0 offset:96
	buffer_load_dword v11, off, s[24:27], 0 offset:100
	buffer_load_dword v12, off, s[24:27], 0 offset:104
	buffer_load_dword v13, off, s[24:27], 0 offset:108
	v_add_co_u32 v8, vcc_lo, v8, s5
	v_add_co_ci_u32_e32 v9, vcc_lo, s4, v9, vcc_lo
	s_waitcnt vmcnt(0) lgkmcnt(0)
	v_mul_f64 v[4:5], v[12:13], v[2:3]
	v_fma_f64 v[4:5], v[10:11], v[0:1], v[4:5]
	v_mul_f64 v[0:1], v[12:13], v[0:1]
	v_mul_f64 v[4:5], v[4:5], s[2:3]
	v_fma_f64 v[0:1], v[10:11], v[2:3], -v[0:1]
	v_mul_f64 v[6:7], v[0:1], s[2:3]
	ds_read_b128 v[0:3], v76 offset:46656
	global_store_dwordx4 v[8:9], v[4:7], off
	;; [unrolled: 16-line block ×3, first 2 shown]
	s_clause 0x3
	buffer_load_dword v10, off, s[24:27], 0 offset:128
	buffer_load_dword v11, off, s[24:27], 0 offset:132
	;; [unrolled: 1-line block ×4, first 2 shown]
	v_mad_u64_u32 v[8:9], null, 0xffff58f0, s0, v[8:9]
	v_add_nc_u32_e32 v9, s1, v9
	s_waitcnt vmcnt(0) lgkmcnt(0)
	v_mul_f64 v[4:5], v[12:13], v[2:3]
	v_fma_f64 v[4:5], v[10:11], v[0:1], v[4:5]
	v_mul_f64 v[0:1], v[12:13], v[0:1]
	v_mul_f64 v[4:5], v[4:5], s[2:3]
	v_fma_f64 v[0:1], v[10:11], v[2:3], -v[0:1]
	v_mul_f64 v[6:7], v[0:1], s[2:3]
	ds_read_b128 v[0:3], v76 offset:15552
	global_store_dwordx4 v[8:9], v[4:7], off
	s_clause 0x3
	buffer_load_dword v10, off, s[24:27], 0 offset:144
	buffer_load_dword v11, off, s[24:27], 0 offset:148
	buffer_load_dword v12, off, s[24:27], 0 offset:152
	buffer_load_dword v13, off, s[24:27], 0 offset:156
	v_add_co_u32 v8, vcc_lo, v8, s5
	v_add_co_ci_u32_e32 v9, vcc_lo, s4, v9, vcc_lo
	s_waitcnt vmcnt(0) lgkmcnt(0)
	v_mul_f64 v[4:5], v[12:13], v[2:3]
	v_fma_f64 v[4:5], v[10:11], v[0:1], v[4:5]
	v_mul_f64 v[0:1], v[12:13], v[0:1]
	v_mul_f64 v[4:5], v[4:5], s[2:3]
	v_fma_f64 v[0:1], v[10:11], v[2:3], -v[0:1]
	v_mul_f64 v[6:7], v[0:1], s[2:3]
	ds_read_b128 v[0:3], v76 offset:27216
	global_store_dwordx4 v[8:9], v[4:7], off
	s_clause 0x3
	buffer_load_dword v10, off, s[24:27], 0 offset:160
	buffer_load_dword v11, off, s[24:27], 0 offset:164
	buffer_load_dword v12, off, s[24:27], 0 offset:168
	buffer_load_dword v13, off, s[24:27], 0 offset:172
	v_add_co_u32 v8, vcc_lo, v8, s5
	v_add_co_ci_u32_e32 v9, vcc_lo, s4, v9, vcc_lo
	;; [unrolled: 16-line block ×3, first 2 shown]
	s_waitcnt vmcnt(0) lgkmcnt(0)
	v_mul_f64 v[4:5], v[12:13], v[2:3]
	v_fma_f64 v[4:5], v[10:11], v[0:1], v[4:5]
	v_mul_f64 v[0:1], v[12:13], v[0:1]
	v_mul_f64 v[4:5], v[4:5], s[2:3]
	v_fma_f64 v[0:1], v[10:11], v[2:3], -v[0:1]
	v_mul_f64 v[6:7], v[0:1], s[2:3]
	ds_read_b128 v[0:3], v76 offset:50544
	global_store_dwordx4 v[8:9], v[4:7], off
	s_clause 0x3
	buffer_load_dword v10, off, s[24:27], 0 offset:192
	buffer_load_dword v11, off, s[24:27], 0 offset:196
	;; [unrolled: 1-line block ×4, first 2 shown]
	s_waitcnt vmcnt(0) lgkmcnt(0)
	v_mul_f64 v[4:5], v[12:13], v[2:3]
	v_fma_f64 v[4:5], v[10:11], v[0:1], v[4:5]
	v_mul_f64 v[0:1], v[12:13], v[0:1]
	v_mul_f64 v[4:5], v[4:5], s[2:3]
	v_fma_f64 v[0:1], v[10:11], v[2:3], -v[0:1]
	v_mul_f64 v[6:7], v[0:1], s[2:3]
	v_add_co_u32 v0, vcc_lo, v8, s5
	v_add_co_ci_u32_e32 v1, vcc_lo, s4, v9, vcc_lo
	global_store_dwordx4 v[0:1], v[4:7], off
	ds_read_b128 v[2:5], v76 offset:7776
	s_clause 0x3
	buffer_load_dword v8, off, s[24:27], 0 offset:32
	buffer_load_dword v9, off, s[24:27], 0 offset:36
	buffer_load_dword v10, off, s[24:27], 0 offset:40
	buffer_load_dword v11, off, s[24:27], 0 offset:44
	s_waitcnt vmcnt(0) lgkmcnt(0)
	v_mul_f64 v[6:7], v[10:11], v[4:5]
	v_fma_f64 v[6:7], v[8:9], v[2:3], v[6:7]
	v_mul_f64 v[2:3], v[10:11], v[2:3]
	v_mad_u64_u32 v[10:11], null, 0xffff58f0, s0, v[0:1]
	v_add_nc_u32_e32 v11, s1, v11
	v_mul_f64 v[6:7], v[6:7], s[2:3]
	v_fma_f64 v[2:3], v[8:9], v[4:5], -v[2:3]
	v_mul_f64 v[8:9], v[2:3], s[2:3]
	ds_read_b128 v[0:3], v76 offset:19440
	global_store_dwordx4 v[10:11], v[6:9], off
	s_clause 0x3
	buffer_load_dword v6, off, s[24:27], 0 offset:48
	buffer_load_dword v7, off, s[24:27], 0 offset:52
	;; [unrolled: 1-line block ×4, first 2 shown]
	s_waitcnt vmcnt(0) lgkmcnt(0)
	v_mul_f64 v[4:5], v[8:9], v[2:3]
	v_fma_f64 v[4:5], v[6:7], v[0:1], v[4:5]
	v_mul_f64 v[0:1], v[8:9], v[0:1]
	v_add_co_u32 v8, vcc_lo, v10, s5
	v_add_co_ci_u32_e32 v9, vcc_lo, s4, v11, vcc_lo
	v_mul_f64 v[4:5], v[4:5], s[2:3]
	v_fma_f64 v[0:1], v[6:7], v[2:3], -v[0:1]
	v_mul_f64 v[6:7], v[0:1], s[2:3]
	ds_read_b128 v[0:3], v76 offset:31104
	global_store_dwordx4 v[8:9], v[4:7], off
	s_clause 0x3
	buffer_load_dword v10, off, s[24:27], 0 offset:64
	buffer_load_dword v11, off, s[24:27], 0 offset:68
	;; [unrolled: 1-line block ×4, first 2 shown]
	v_add_co_u32 v8, vcc_lo, v8, s5
	v_add_co_ci_u32_e32 v9, vcc_lo, s4, v9, vcc_lo
	s_waitcnt vmcnt(0) lgkmcnt(0)
	v_mul_f64 v[4:5], v[12:13], v[2:3]
	v_fma_f64 v[4:5], v[10:11], v[0:1], v[4:5]
	v_mul_f64 v[0:1], v[12:13], v[0:1]
	v_mul_f64 v[4:5], v[4:5], s[2:3]
	v_fma_f64 v[0:1], v[10:11], v[2:3], -v[0:1]
	v_mul_f64 v[6:7], v[0:1], s[2:3]
	ds_read_b128 v[0:3], v76 offset:42768
	global_store_dwordx4 v[8:9], v[4:7], off
	s_clause 0x3
	buffer_load_dword v10, off, s[24:27], 0 offset:16
	buffer_load_dword v11, off, s[24:27], 0 offset:20
	;; [unrolled: 1-line block ×4, first 2 shown]
	v_add_co_u32 v8, vcc_lo, v8, s5
	v_add_co_ci_u32_e32 v9, vcc_lo, s4, v9, vcc_lo
	s_waitcnt vmcnt(0) lgkmcnt(0)
	v_mul_f64 v[4:5], v[12:13], v[2:3]
	v_fma_f64 v[4:5], v[10:11], v[0:1], v[4:5]
	v_mul_f64 v[0:1], v[12:13], v[0:1]
	v_mul_f64 v[4:5], v[4:5], s[2:3]
	v_fma_f64 v[0:1], v[10:11], v[2:3], -v[0:1]
	v_mul_f64 v[6:7], v[0:1], s[2:3]
	ds_read_b128 v[0:3], v76 offset:54432
	global_store_dwordx4 v[8:9], v[4:7], off
	s_clause 0x3
	buffer_load_dword v10, off, s[24:27], 0
	buffer_load_dword v11, off, s[24:27], 0 offset:4
	buffer_load_dword v12, off, s[24:27], 0 offset:8
	;; [unrolled: 1-line block ×3, first 2 shown]
	s_waitcnt vmcnt(0) lgkmcnt(0)
	v_mul_f64 v[4:5], v[12:13], v[2:3]
	v_fma_f64 v[4:5], v[10:11], v[0:1], v[4:5]
	v_mul_f64 v[0:1], v[12:13], v[0:1]
	v_mul_f64 v[4:5], v[4:5], s[2:3]
	v_fma_f64 v[0:1], v[10:11], v[2:3], -v[0:1]
	v_mul_f64 v[6:7], v[0:1], s[2:3]
	v_add_co_u32 v0, vcc_lo, v8, s5
	v_add_co_ci_u32_e32 v1, vcc_lo, s4, v9, vcc_lo
	global_store_dwordx4 v[0:1], v[4:7], off
.LBB0_2:
	s_endpgm
	.section	.rodata,"a",@progbits
	.p2align	6, 0x0
	.amdhsa_kernel bluestein_single_fwd_len3645_dim1_dp_op_CI_CI
		.amdhsa_group_segment_fixed_size 58320
		.amdhsa_private_segment_fixed_size 644
		.amdhsa_kernarg_size 104
		.amdhsa_user_sgpr_count 6
		.amdhsa_user_sgpr_private_segment_buffer 1
		.amdhsa_user_sgpr_dispatch_ptr 0
		.amdhsa_user_sgpr_queue_ptr 0
		.amdhsa_user_sgpr_kernarg_segment_ptr 1
		.amdhsa_user_sgpr_dispatch_id 0
		.amdhsa_user_sgpr_flat_scratch_init 0
		.amdhsa_user_sgpr_private_segment_size 0
		.amdhsa_wavefront_size32 1
		.amdhsa_uses_dynamic_stack 0
		.amdhsa_system_sgpr_private_segment_wavefront_offset 1
		.amdhsa_system_sgpr_workgroup_id_x 1
		.amdhsa_system_sgpr_workgroup_id_y 0
		.amdhsa_system_sgpr_workgroup_id_z 0
		.amdhsa_system_sgpr_workgroup_info 0
		.amdhsa_system_vgpr_workitem_id 0
		.amdhsa_next_free_vgpr 256
		.amdhsa_next_free_sgpr 28
		.amdhsa_reserve_vcc 1
		.amdhsa_reserve_flat_scratch 0
		.amdhsa_float_round_mode_32 0
		.amdhsa_float_round_mode_16_64 0
		.amdhsa_float_denorm_mode_32 3
		.amdhsa_float_denorm_mode_16_64 3
		.amdhsa_dx10_clamp 1
		.amdhsa_ieee_mode 1
		.amdhsa_fp16_overflow 0
		.amdhsa_workgroup_processor_mode 1
		.amdhsa_memory_ordered 1
		.amdhsa_forward_progress 0
		.amdhsa_shared_vgpr_count 0
		.amdhsa_exception_fp_ieee_invalid_op 0
		.amdhsa_exception_fp_denorm_src 0
		.amdhsa_exception_fp_ieee_div_zero 0
		.amdhsa_exception_fp_ieee_overflow 0
		.amdhsa_exception_fp_ieee_underflow 0
		.amdhsa_exception_fp_ieee_inexact 0
		.amdhsa_exception_int_div_zero 0
	.end_amdhsa_kernel
	.text
.Lfunc_end0:
	.size	bluestein_single_fwd_len3645_dim1_dp_op_CI_CI, .Lfunc_end0-bluestein_single_fwd_len3645_dim1_dp_op_CI_CI
                                        ; -- End function
	.section	.AMDGPU.csdata,"",@progbits
; Kernel info:
; codeLenInByte = 27632
; NumSgprs: 30
; NumVgprs: 256
; ScratchSize: 644
; MemoryBound: 0
; FloatMode: 240
; IeeeMode: 1
; LDSByteSize: 58320 bytes/workgroup (compile time only)
; SGPRBlocks: 3
; VGPRBlocks: 31
; NumSGPRsForWavesPerEU: 30
; NumVGPRsForWavesPerEU: 256
; Occupancy: 4
; WaveLimiterHint : 1
; COMPUTE_PGM_RSRC2:SCRATCH_EN: 1
; COMPUTE_PGM_RSRC2:USER_SGPR: 6
; COMPUTE_PGM_RSRC2:TRAP_HANDLER: 0
; COMPUTE_PGM_RSRC2:TGID_X_EN: 1
; COMPUTE_PGM_RSRC2:TGID_Y_EN: 0
; COMPUTE_PGM_RSRC2:TGID_Z_EN: 0
; COMPUTE_PGM_RSRC2:TIDIG_COMP_CNT: 0
	.text
	.p2alignl 6, 3214868480
	.fill 48, 4, 3214868480
	.type	__hip_cuid_d0da54b3c19aaddf,@object ; @__hip_cuid_d0da54b3c19aaddf
	.section	.bss,"aw",@nobits
	.globl	__hip_cuid_d0da54b3c19aaddf
__hip_cuid_d0da54b3c19aaddf:
	.byte	0                               ; 0x0
	.size	__hip_cuid_d0da54b3c19aaddf, 1

	.ident	"AMD clang version 19.0.0git (https://github.com/RadeonOpenCompute/llvm-project roc-6.4.0 25133 c7fe45cf4b819c5991fe208aaa96edf142730f1d)"
	.section	".note.GNU-stack","",@progbits
	.addrsig
	.addrsig_sym __hip_cuid_d0da54b3c19aaddf
	.amdgpu_metadata
---
amdhsa.kernels:
  - .args:
      - .actual_access:  read_only
        .address_space:  global
        .offset:         0
        .size:           8
        .value_kind:     global_buffer
      - .actual_access:  read_only
        .address_space:  global
        .offset:         8
        .size:           8
        .value_kind:     global_buffer
      - .actual_access:  read_only
        .address_space:  global
        .offset:         16
        .size:           8
        .value_kind:     global_buffer
      - .actual_access:  read_only
        .address_space:  global
        .offset:         24
        .size:           8
        .value_kind:     global_buffer
      - .actual_access:  read_only
        .address_space:  global
        .offset:         32
        .size:           8
        .value_kind:     global_buffer
      - .offset:         40
        .size:           8
        .value_kind:     by_value
      - .address_space:  global
        .offset:         48
        .size:           8
        .value_kind:     global_buffer
      - .address_space:  global
        .offset:         56
        .size:           8
        .value_kind:     global_buffer
      - .address_space:  global
        .offset:         64
        .size:           8
        .value_kind:     global_buffer
      - .address_space:  global
        .offset:         72
        .size:           8
        .value_kind:     global_buffer
      - .offset:         80
        .size:           4
        .value_kind:     by_value
      - .address_space:  global
        .offset:         88
        .size:           8
        .value_kind:     global_buffer
      - .address_space:  global
        .offset:         96
        .size:           8
        .value_kind:     global_buffer
    .group_segment_fixed_size: 58320
    .kernarg_segment_align: 8
    .kernarg_segment_size: 104
    .language:       OpenCL C
    .language_version:
      - 2
      - 0
    .max_flat_workgroup_size: 243
    .name:           bluestein_single_fwd_len3645_dim1_dp_op_CI_CI
    .private_segment_fixed_size: 644
    .sgpr_count:     30
    .sgpr_spill_count: 0
    .symbol:         bluestein_single_fwd_len3645_dim1_dp_op_CI_CI.kd
    .uniform_work_group_size: 1
    .uses_dynamic_stack: false
    .vgpr_count:     256
    .vgpr_spill_count: 160
    .wavefront_size: 32
    .workgroup_processor_mode: 1
amdhsa.target:   amdgcn-amd-amdhsa--gfx1030
amdhsa.version:
  - 1
  - 2
...

	.end_amdgpu_metadata
